;; amdgpu-corpus repo=ROCm/rocFFT kind=compiled arch=gfx906 opt=O3
	.text
	.amdgcn_target "amdgcn-amd-amdhsa--gfx906"
	.amdhsa_code_object_version 6
	.protected	fft_rtc_back_len408_factors_17_3_8_wgs_51_tpt_17_halfLds_dp_op_CI_CI_unitstride_sbrr_R2C_dirReg ; -- Begin function fft_rtc_back_len408_factors_17_3_8_wgs_51_tpt_17_halfLds_dp_op_CI_CI_unitstride_sbrr_R2C_dirReg
	.globl	fft_rtc_back_len408_factors_17_3_8_wgs_51_tpt_17_halfLds_dp_op_CI_CI_unitstride_sbrr_R2C_dirReg
	.p2align	8
	.type	fft_rtc_back_len408_factors_17_3_8_wgs_51_tpt_17_halfLds_dp_op_CI_CI_unitstride_sbrr_R2C_dirReg,@function
fft_rtc_back_len408_factors_17_3_8_wgs_51_tpt_17_halfLds_dp_op_CI_CI_unitstride_sbrr_R2C_dirReg: ; @fft_rtc_back_len408_factors_17_3_8_wgs_51_tpt_17_halfLds_dp_op_CI_CI_unitstride_sbrr_R2C_dirReg
; %bb.0:
	s_load_dwordx4 s[8:11], s[4:5], 0x58
	s_load_dwordx4 s[12:15], s[4:5], 0x0
	;; [unrolled: 1-line block ×3, first 2 shown]
	v_mul_u32_u24_e32 v1, 0xf10, v0
	v_lshrrev_b32_e32 v1, 16, v1
	v_mad_u64_u32 v[3:4], s[0:1], s6, 3, v[1:2]
	v_mov_b32_e32 v5, 0
	v_mov_b32_e32 v1, 0
	;; [unrolled: 1-line block ×3, first 2 shown]
	s_waitcnt lgkmcnt(0)
	v_cmp_lt_u64_e64 s[0:1], s[14:15], 2
	v_mov_b32_e32 v2, 0
	v_mov_b32_e32 v105, v2
	;; [unrolled: 1-line block ×3, first 2 shown]
	s_and_b64 vcc, exec, s[0:1]
	v_mov_b32_e32 v104, v1
	v_mov_b32_e32 v110, v3
	s_cbranch_vccnz .LBB0_8
; %bb.1:
	s_load_dwordx2 s[0:1], s[4:5], 0x10
	s_add_u32 s2, s18, 8
	s_addc_u32 s3, s19, 0
	s_add_u32 s6, s16, 8
	v_mov_b32_e32 v1, 0
	s_addc_u32 s7, s17, 0
	v_mov_b32_e32 v2, 0
	s_waitcnt lgkmcnt(0)
	s_add_u32 s20, s0, 8
	v_mov_b32_e32 v105, v2
	v_mov_b32_e32 v8, v4
	s_addc_u32 s21, s1, 0
	s_mov_b64 s[22:23], 1
	v_mov_b32_e32 v104, v1
	v_mov_b32_e32 v7, v3
.LBB0_2:                                ; =>This Inner Loop Header: Depth=1
	s_load_dwordx2 s[24:25], s[20:21], 0x0
                                        ; implicit-def: $vgpr110_vgpr111
	s_waitcnt lgkmcnt(0)
	v_or_b32_e32 v6, s25, v8
	v_cmp_ne_u64_e32 vcc, 0, v[5:6]
	s_and_saveexec_b64 s[0:1], vcc
	s_xor_b64 s[26:27], exec, s[0:1]
	s_cbranch_execz .LBB0_4
; %bb.3:                                ;   in Loop: Header=BB0_2 Depth=1
	v_cvt_f32_u32_e32 v4, s24
	v_cvt_f32_u32_e32 v6, s25
	s_sub_u32 s0, 0, s24
	s_subb_u32 s1, 0, s25
	v_mac_f32_e32 v4, 0x4f800000, v6
	v_rcp_f32_e32 v4, v4
	v_mul_f32_e32 v4, 0x5f7ffffc, v4
	v_mul_f32_e32 v6, 0x2f800000, v4
	v_trunc_f32_e32 v6, v6
	v_mac_f32_e32 v4, 0xcf800000, v6
	v_cvt_u32_f32_e32 v6, v6
	v_cvt_u32_f32_e32 v4, v4
	v_mul_lo_u32 v9, s0, v6
	v_mul_hi_u32 v10, s0, v4
	v_mul_lo_u32 v12, s1, v4
	v_mul_lo_u32 v11, s0, v4
	v_add_u32_e32 v9, v10, v9
	v_add_u32_e32 v9, v9, v12
	v_mul_hi_u32 v10, v4, v11
	v_mul_lo_u32 v12, v4, v9
	v_mul_hi_u32 v14, v4, v9
	v_mul_hi_u32 v13, v6, v11
	v_mul_lo_u32 v11, v6, v11
	v_mul_hi_u32 v15, v6, v9
	v_add_co_u32_e32 v10, vcc, v10, v12
	v_addc_co_u32_e32 v12, vcc, 0, v14, vcc
	v_mul_lo_u32 v9, v6, v9
	v_add_co_u32_e32 v10, vcc, v10, v11
	v_addc_co_u32_e32 v10, vcc, v12, v13, vcc
	v_addc_co_u32_e32 v11, vcc, 0, v15, vcc
	v_add_co_u32_e32 v9, vcc, v10, v9
	v_addc_co_u32_e32 v10, vcc, 0, v11, vcc
	v_add_co_u32_e32 v4, vcc, v4, v9
	v_addc_co_u32_e32 v6, vcc, v6, v10, vcc
	v_mul_lo_u32 v9, s0, v6
	v_mul_hi_u32 v10, s0, v4
	v_mul_lo_u32 v11, s1, v4
	v_mul_lo_u32 v12, s0, v4
	v_add_u32_e32 v9, v10, v9
	v_add_u32_e32 v9, v9, v11
	v_mul_lo_u32 v13, v4, v9
	v_mul_hi_u32 v14, v4, v12
	v_mul_hi_u32 v15, v4, v9
	;; [unrolled: 1-line block ×3, first 2 shown]
	v_mul_lo_u32 v12, v6, v12
	v_mul_hi_u32 v10, v6, v9
	v_add_co_u32_e32 v13, vcc, v14, v13
	v_addc_co_u32_e32 v14, vcc, 0, v15, vcc
	v_mul_lo_u32 v9, v6, v9
	v_add_co_u32_e32 v12, vcc, v13, v12
	v_addc_co_u32_e32 v11, vcc, v14, v11, vcc
	v_addc_co_u32_e32 v10, vcc, 0, v10, vcc
	v_add_co_u32_e32 v9, vcc, v11, v9
	v_addc_co_u32_e32 v10, vcc, 0, v10, vcc
	v_add_co_u32_e32 v4, vcc, v4, v9
	v_addc_co_u32_e32 v6, vcc, v6, v10, vcc
	v_mad_u64_u32 v[9:10], s[0:1], v7, v6, 0
	v_mul_hi_u32 v11, v7, v4
	v_add_co_u32_e32 v13, vcc, v11, v9
	v_addc_co_u32_e32 v14, vcc, 0, v10, vcc
	v_mad_u64_u32 v[9:10], s[0:1], v8, v4, 0
	v_mad_u64_u32 v[11:12], s[0:1], v8, v6, 0
	v_add_co_u32_e32 v4, vcc, v13, v9
	v_addc_co_u32_e32 v4, vcc, v14, v10, vcc
	v_addc_co_u32_e32 v6, vcc, 0, v12, vcc
	v_add_co_u32_e32 v4, vcc, v4, v11
	v_addc_co_u32_e32 v6, vcc, 0, v6, vcc
	v_mul_lo_u32 v11, s25, v4
	v_mul_lo_u32 v12, s24, v6
	v_mad_u64_u32 v[9:10], s[0:1], s24, v4, 0
	v_add3_u32 v10, v10, v12, v11
	v_sub_u32_e32 v11, v8, v10
	v_mov_b32_e32 v12, s25
	v_sub_co_u32_e32 v9, vcc, v7, v9
	v_subb_co_u32_e64 v11, s[0:1], v11, v12, vcc
	v_subrev_co_u32_e64 v12, s[0:1], s24, v9
	v_subbrev_co_u32_e64 v11, s[0:1], 0, v11, s[0:1]
	v_cmp_le_u32_e64 s[0:1], s25, v11
	v_cndmask_b32_e64 v13, 0, -1, s[0:1]
	v_cmp_le_u32_e64 s[0:1], s24, v12
	v_cndmask_b32_e64 v12, 0, -1, s[0:1]
	v_cmp_eq_u32_e64 s[0:1], s25, v11
	v_cndmask_b32_e64 v11, v13, v12, s[0:1]
	v_add_co_u32_e64 v12, s[0:1], 2, v4
	v_addc_co_u32_e64 v13, s[0:1], 0, v6, s[0:1]
	v_add_co_u32_e64 v14, s[0:1], 1, v4
	v_addc_co_u32_e64 v15, s[0:1], 0, v6, s[0:1]
	v_subb_co_u32_e32 v10, vcc, v8, v10, vcc
	v_cmp_ne_u32_e64 s[0:1], 0, v11
	v_cmp_le_u32_e32 vcc, s25, v10
	v_cndmask_b32_e64 v11, v15, v13, s[0:1]
	v_cndmask_b32_e64 v13, 0, -1, vcc
	v_cmp_le_u32_e32 vcc, s24, v9
	v_cndmask_b32_e64 v9, 0, -1, vcc
	v_cmp_eq_u32_e32 vcc, s25, v10
	v_cndmask_b32_e32 v9, v13, v9, vcc
	v_cmp_ne_u32_e32 vcc, 0, v9
	v_cndmask_b32_e32 v111, v6, v11, vcc
	v_cndmask_b32_e64 v6, v14, v12, s[0:1]
	v_cndmask_b32_e32 v110, v4, v6, vcc
.LBB0_4:                                ;   in Loop: Header=BB0_2 Depth=1
	s_andn2_saveexec_b64 s[0:1], s[26:27]
	s_cbranch_execz .LBB0_6
; %bb.5:                                ;   in Loop: Header=BB0_2 Depth=1
	v_cvt_f32_u32_e32 v4, s24
	s_sub_i32 s26, 0, s24
	v_mov_b32_e32 v111, v5
	v_rcp_iflag_f32_e32 v4, v4
	v_mul_f32_e32 v4, 0x4f7ffffe, v4
	v_cvt_u32_f32_e32 v4, v4
	v_mul_lo_u32 v6, s26, v4
	v_mul_hi_u32 v6, v4, v6
	v_add_u32_e32 v4, v4, v6
	v_mul_hi_u32 v4, v7, v4
	v_mul_lo_u32 v6, v4, s24
	v_add_u32_e32 v9, 1, v4
	v_sub_u32_e32 v6, v7, v6
	v_subrev_u32_e32 v10, s24, v6
	v_cmp_le_u32_e32 vcc, s24, v6
	v_cndmask_b32_e32 v6, v6, v10, vcc
	v_cndmask_b32_e32 v4, v4, v9, vcc
	v_add_u32_e32 v9, 1, v4
	v_cmp_le_u32_e32 vcc, s24, v6
	v_cndmask_b32_e32 v110, v4, v9, vcc
.LBB0_6:                                ;   in Loop: Header=BB0_2 Depth=1
	s_or_b64 exec, exec, s[0:1]
	v_mul_lo_u32 v4, v111, s24
	v_mul_lo_u32 v6, v110, s25
	v_mad_u64_u32 v[9:10], s[0:1], v110, s24, 0
	s_load_dwordx2 s[0:1], s[6:7], 0x0
	s_load_dwordx2 s[24:25], s[2:3], 0x0
	v_add3_u32 v4, v10, v6, v4
	v_sub_co_u32_e32 v6, vcc, v7, v9
	v_subb_co_u32_e32 v4, vcc, v8, v4, vcc
	s_waitcnt lgkmcnt(0)
	v_mul_lo_u32 v7, s0, v4
	v_mul_lo_u32 v8, s1, v6
	v_mad_u64_u32 v[1:2], s[0:1], s0, v6, v[1:2]
	s_add_u32 s22, s22, 1
	s_addc_u32 s23, s23, 0
	s_add_u32 s2, s2, 8
	v_mul_lo_u32 v4, s24, v4
	v_mul_lo_u32 v9, s25, v6
	v_mad_u64_u32 v[104:105], s[0:1], s24, v6, v[104:105]
	v_add3_u32 v2, v8, v2, v7
	s_addc_u32 s3, s3, 0
	v_mov_b32_e32 v6, s14
	s_add_u32 s6, s6, 8
	v_mov_b32_e32 v7, s15
	s_addc_u32 s7, s7, 0
	v_cmp_ge_u64_e32 vcc, s[22:23], v[6:7]
	s_add_u32 s20, s20, 8
	v_add3_u32 v105, v9, v105, v4
	s_addc_u32 s21, s21, 0
	s_cbranch_vccnz .LBB0_8
; %bb.7:                                ;   in Loop: Header=BB0_2 Depth=1
	v_mov_b32_e32 v7, v110
	v_mov_b32_e32 v8, v111
	s_branch .LBB0_2
.LBB0_8:
	s_mov_b32 s2, 0xaaaaaaab
	s_load_dwordx2 s[0:1], s[4:5], 0x28
	v_mul_hi_u32 v4, v3, s2
	s_lshl_b64 s[6:7], s[14:15], 3
	s_add_u32 s2, s18, s6
	s_addc_u32 s3, s19, s7
	v_lshrrev_b32_e32 v4, 1, v4
	v_lshl_add_u32 v4, v4, 1, v4
	s_waitcnt lgkmcnt(0)
	v_cmp_gt_u64_e32 vcc, s[0:1], v[110:111]
	v_cmp_le_u64_e64 s[0:1], s[0:1], v[110:111]
	v_sub_u32_e32 v3, v3, v4
                                        ; implicit-def: $vgpr106
                                        ; implicit-def: $vgpr108
	s_and_saveexec_b64 s[4:5], s[0:1]
	s_xor_b64 s[0:1], exec, s[4:5]
; %bb.9:
	s_mov_b32 s4, 0xf0f0f10
	v_mul_hi_u32 v1, v0, s4
	v_mul_u32_u24_e32 v1, 17, v1
	v_sub_u32_e32 v106, v0, v1
	v_add_u32_e32 v108, 17, v106
                                        ; implicit-def: $vgpr0
                                        ; implicit-def: $vgpr1_vgpr2
; %bb.10:
	s_or_saveexec_b64 s[4:5], s[0:1]
	v_mul_u32_u24_e32 v3, 0x199, v3
	v_lshlrev_b32_e32 v178, 4, v3
	s_xor_b64 exec, exec, s[4:5]
	s_cbranch_execz .LBB0_12
; %bb.11:
	s_add_u32 s0, s16, s6
	s_addc_u32 s1, s17, s7
	s_load_dwordx2 s[0:1], s[0:1], 0x0
	s_mov_b32 s6, 0xf0f0f10
	v_mul_hi_u32 v5, v0, s6
	s_waitcnt lgkmcnt(0)
	v_mul_lo_u32 v6, s1, v110
	v_mul_lo_u32 v7, s0, v111
	v_mad_u64_u32 v[3:4], s[0:1], s0, v110, 0
	v_mul_u32_u24_e32 v5, 17, v5
	v_sub_u32_e32 v106, v0, v5
	v_add3_u32 v4, v4, v7, v6
	v_lshlrev_b64 v[3:4], 4, v[3:4]
	v_mov_b32_e32 v0, s9
	v_add_co_u32_e64 v3, s[0:1], s8, v3
	v_addc_co_u32_e64 v4, s[0:1], v0, v4, s[0:1]
	v_lshlrev_b64 v[0:1], 4, v[1:2]
	v_lshlrev_b32_e32 v100, 4, v106
	v_add_co_u32_e64 v0, s[0:1], v3, v0
	v_addc_co_u32_e64 v1, s[0:1], v4, v1, s[0:1]
	v_add_co_u32_e64 v96, s[0:1], v0, v100
	v_addc_co_u32_e64 v97, s[0:1], 0, v1, s[0:1]
	s_movk_i32 s0, 0x1000
	v_add_co_u32_e64 v98, s[0:1], s0, v96
	global_load_dwordx4 v[0:3], v[96:97], off
	global_load_dwordx4 v[4:7], v[96:97], off offset:272
	global_load_dwordx4 v[8:11], v[96:97], off offset:544
	;; [unrolled: 1-line block ×13, first 2 shown]
	v_addc_co_u32_e64 v99, s[0:1], 0, v97, s[0:1]
	global_load_dwordx4 v[56:59], v[96:97], off offset:3808
	global_load_dwordx4 v[60:63], v[96:97], off offset:4080
	global_load_dwordx4 v[64:67], v[98:99], off offset:256
	global_load_dwordx4 v[68:71], v[98:99], off offset:528
	global_load_dwordx4 v[72:75], v[98:99], off offset:800
	global_load_dwordx4 v[76:79], v[98:99], off offset:1072
	global_load_dwordx4 v[80:83], v[98:99], off offset:1344
	global_load_dwordx4 v[84:87], v[98:99], off offset:1616
	global_load_dwordx4 v[88:91], v[98:99], off offset:1888
	global_load_dwordx4 v[92:95], v[98:99], off offset:2160
	v_add_u32_e32 v108, 17, v106
	v_add3_u32 v96, 0, v178, v100
	s_waitcnt vmcnt(23)
	ds_write_b128 v96, v[0:3]
	s_waitcnt vmcnt(22)
	ds_write_b128 v96, v[4:7] offset:272
	s_waitcnt vmcnt(21)
	ds_write_b128 v96, v[8:11] offset:544
	;; [unrolled: 2-line block ×23, first 2 shown]
.LBB0_12:
	s_or_b64 exec, exec, s[4:5]
	v_lshlrev_b32_e32 v107, 4, v106
	v_add_u32_e32 v0, 0, v107
	v_add_u32_e32 v176, 0, v178
	v_add_u32_e32 v109, v0, v178
	s_load_dwordx2 s[2:3], s[2:3], 0x0
	s_waitcnt lgkmcnt(0)
	; wave barrier
	s_waitcnt lgkmcnt(0)
	v_add_u32_e32 v177, v176, v107
	ds_read_b128 v[72:75], v109 offset:384
	ds_read_b128 v[68:71], v177
	ds_read_b128 v[0:3], v109 offset:272
	ds_read_b128 v[4:7], v109 offset:656
	;; [unrolled: 1-line block ×5, first 2 shown]
	s_waitcnt lgkmcnt(5)
	v_add_f64 v[12:13], v[68:69], v[72:73]
	v_add_f64 v[14:15], v[70:71], v[74:75]
	ds_read_b128 v[32:35], v109 offset:1536
	ds_read_b128 v[28:31], v109 offset:1920
	;; [unrolled: 1-line block ×4, first 2 shown]
	s_mov_b32 s16, 0x5d8e7cdc
	s_mov_b32 s20, 0x2a9d6da3
	s_waitcnt lgkmcnt(6)
	v_add_f64 v[16:17], v[12:13], v[76:77]
	v_add_f64 v[18:19], v[14:15], v[78:79]
	ds_read_b128 v[12:15], v109 offset:1424
	s_mov_b32 s17, 0xbfd71e95
	s_mov_b32 s21, 0xbfe58eea
	s_mov_b32 s4, 0x370991
	s_mov_b32 s6, 0x75d4884
	s_mov_b32 s5, 0x3fedd6d0
	s_waitcnt lgkmcnt(5)
	v_add_f64 v[20:21], v[16:17], v[24:25]
	v_add_f64 v[22:23], v[18:19], v[26:27]
	ds_read_b128 v[16:19], v109 offset:1808
	s_mov_b32 s7, 0x3fe7a5f6
	s_mov_b32 s18, 0x7c9e640b
	;; [unrolled: 1-line block ×5, first 2 shown]
	s_waitcnt lgkmcnt(5)
	v_add_f64 v[36:37], v[20:21], v[32:33]
	v_add_f64 v[38:39], v[22:23], v[34:35]
	ds_read_b128 v[20:23], v109 offset:2192
	ds_read_b128 v[40:43], v109 offset:2576
	s_mov_b32 s38, 0x4363dd80
	s_mov_b32 s40, 0xacd6c6b4
	;; [unrolled: 1-line block ×4, first 2 shown]
	s_waitcnt lgkmcnt(6)
	v_add_f64 v[44:45], v[36:37], v[28:29]
	v_add_f64 v[46:47], v[38:39], v[30:31]
	ds_read_b128 v[36:39], v109 offset:2304
	s_mov_b32 s29, 0xbfeec746
	s_mov_b32 s31, 0xbfe9895b
	;; [unrolled: 1-line block ×5, first 2 shown]
	s_waitcnt lgkmcnt(0)
	v_add_f64 v[44:45], v[44:45], v[36:37]
	v_add_f64 v[46:47], v[46:47], v[38:39]
	s_mov_b32 s14, 0x3259b75e
	s_mov_b32 s22, 0xc61f0d01
	;; [unrolled: 1-line block ×6, first 2 shown]
	v_add_f64 v[56:57], v[44:45], v[48:49]
	v_add_f64 v[58:59], v[46:47], v[50:51]
	ds_read_b128 v[44:47], v109 offset:3072
	ds_read_b128 v[52:55], v109 offset:3456
	;; [unrolled: 1-line block ×6, first 2 shown]
	s_mov_b32 s15, 0x3fb79ee6
	s_waitcnt lgkmcnt(4)
	v_add_f64 v[80:81], v[44:45], v[52:53]
	v_add_f64 v[90:91], v[56:57], v[44:45]
	;; [unrolled: 1-line block ×4, first 2 shown]
	v_add_f64 v[82:83], v[44:45], -v[52:53]
	v_add_f64 v[86:87], v[46:47], -v[54:55]
	ds_read_b128 v[56:59], v109 offset:3728
	ds_read_b128 v[44:47], v109 offset:4112
	s_waitcnt lgkmcnt(2)
	v_add_f64 v[96:97], v[36:37], v[124:125]
	v_add_f64 v[52:53], v[90:91], v[52:53]
	v_add_f64 v[54:55], v[94:95], v[54:55]
	v_add_f64 v[100:101], v[38:39], v[126:127]
	v_add_f64 v[94:95], v[36:37], -v[124:125]
	v_add_f64 v[114:115], v[38:39], -v[126:127]
	v_add_f64 v[88:89], v[48:49], v[116:117]
	v_add_f64 v[92:93], v[50:51], v[118:119]
	v_add_f64 v[90:91], v[48:49], -v[116:117]
	v_add_f64 v[36:37], v[52:53], v[116:117]
	v_add_f64 v[38:39], v[54:55], v[118:119]
	v_add_f64 v[98:99], v[50:51], -v[118:119]
	ds_read_b128 v[48:51], v109 offset:4496
	ds_read_b128 v[132:135], v109 offset:4608
	ds_read_b128 v[52:55], v109 offset:4880
	ds_read_b128 v[148:151], v109 offset:4992
	ds_read_b128 v[156:159], v109 offset:5760
	v_add_f64 v[36:37], v[36:37], v[124:125]
	v_add_f64 v[38:39], v[38:39], v[126:127]
	v_add_f64 v[164:165], v[74:75], -v[146:147]
	s_waitcnt lgkmcnt(1)
	v_add_f64 v[116:117], v[32:33], v[148:149]
	v_add_f64 v[128:129], v[34:35], v[150:151]
	v_add_f64 v[118:119], v[32:33], -v[148:149]
	v_add_f64 v[130:131], v[34:35], -v[150:151]
	ds_read_b128 v[32:35], v109 offset:5648
	v_add_f64 v[160:161], v[36:37], v[132:133]
	v_add_f64 v[162:163], v[38:39], v[134:135]
	s_waitcnt lgkmcnt(1)
	v_add_f64 v[140:141], v[78:79], v[158:159]
	v_add_f64 v[142:143], v[78:79], -v[158:159]
	v_add_f64 v[112:113], v[28:29], v[132:133]
	v_add_f64 v[120:121], v[30:31], v[134:135]
	v_add_f64 v[102:103], v[28:29], -v[132:133]
	v_add_f64 v[122:123], v[30:31], -v[134:135]
	v_add_f64 v[78:79], v[160:161], v[148:149]
	v_add_f64 v[148:149], v[162:163], v[150:151]
	ds_read_b128 v[28:31], v109 offset:5264
	ds_read_b128 v[152:155], v109 offset:5376
	v_add_f64 v[132:133], v[76:77], v[156:157]
	v_add_f64 v[134:135], v[76:77], -v[156:157]
	v_add_f64 v[76:77], v[72:73], v[144:145]
	v_add_f64 v[150:151], v[74:75], v[146:147]
	v_add_f64 v[160:161], v[72:73], -v[144:145]
	v_mul_f64 v[72:73], v[164:165], s[16:17]
	v_mul_f64 v[74:75], v[164:165], s[20:21]
	s_waitcnt lgkmcnt(0)
	v_add_f64 v[78:79], v[78:79], v[152:153]
	v_add_f64 v[148:149], v[148:149], v[154:155]
	;; [unrolled: 1-line block ×4, first 2 shown]
	v_add_f64 v[124:125], v[24:25], -v[152:153]
	v_add_f64 v[138:139], v[26:27], -v[154:155]
	v_fma_f64 v[168:169], v[76:77], s[4:5], v[72:73]
	v_fma_f64 v[170:171], v[76:77], s[4:5], -v[72:73]
	v_fma_f64 v[172:173], v[76:77], s[6:7], v[74:75]
	v_fma_f64 v[174:175], v[76:77], s[6:7], -v[74:75]
	v_add_f64 v[72:73], v[78:79], v[156:157]
	v_add_f64 v[74:75], v[148:149], v[158:159]
	v_mul_f64 v[162:163], v[164:165], s[18:19]
	v_mul_f64 v[166:167], v[164:165], s[26:27]
	;; [unrolled: 1-line block ×4, first 2 shown]
	s_mov_b32 s23, 0xbfd183b1
	s_mov_b32 s25, 0xbfe348c8
	v_add_f64 v[72:73], v[72:73], v[144:145]
	v_add_f64 v[74:75], v[74:75], v[146:147]
	v_mul_f64 v[144:145], v[164:165], s[38:39]
	v_mul_f64 v[146:147], v[164:165], s[40:41]
	s_mov_b32 s37, 0xbfeb34fa
	s_mov_b32 s35, 0xbfef7484
	v_fma_f64 v[78:79], v[76:77], s[8:9], v[162:163]
	v_fma_f64 v[148:149], v[76:77], s[8:9], -v[162:163]
	v_fma_f64 v[156:157], v[76:77], s[14:15], v[166:167]
	v_fma_f64 v[158:159], v[76:77], s[14:15], -v[166:167]
	;; [unrolled: 2-line block ×5, first 2 shown]
	v_mul_f64 v[179:180], v[150:151], s[4:5]
	v_fma_f64 v[181:182], v[76:77], s[34:35], v[146:147]
	v_fma_f64 v[76:77], v[76:77], s[34:35], -v[146:147]
	v_mul_f64 v[146:147], v[150:151], s[6:7]
	s_mov_b32 s43, 0x3fd71e95
	s_mov_b32 s42, s16
	;; [unrolled: 1-line block ×4, first 2 shown]
	v_fma_f64 v[183:184], v[160:161], s[42:43], v[179:180]
	v_mul_f64 v[185:186], v[150:151], s[8:9]
	v_mul_f64 v[189:190], v[150:151], s[14:15]
	v_fma_f64 v[187:188], v[160:161], s[50:51], v[146:147]
	v_mul_f64 v[193:194], v[150:151], s[22:23]
	v_mul_f64 v[197:198], v[150:151], s[24:25]
	;; [unrolled: 1-line block ×4, first 2 shown]
	s_mov_b32 s45, 0x3feca52d
	s_mov_b32 s44, s18
	;; [unrolled: 1-line block ×12, first 2 shown]
	v_fma_f64 v[179:180], v[160:161], s[16:17], v[179:180]
	v_fma_f64 v[146:147], v[160:161], s[20:21], v[146:147]
	;; [unrolled: 1-line block ×14, first 2 shown]
	v_add_f64 v[160:161], v[68:69], v[168:169]
	v_add_f64 v[168:169], v[70:71], v[183:184]
	;; [unrolled: 1-line block ×5, first 2 shown]
	v_mul_f64 v[78:79], v[142:143], s[20:21]
	v_mul_f64 v[148:149], v[140:141], s[6:7]
	v_add_f64 v[211:212], v[68:69], v[158:159]
	v_add_f64 v[213:214], v[68:69], v[162:163]
	v_mul_f64 v[215:216], v[138:139], s[18:19]
	v_mul_f64 v[217:218], v[136:137], s[8:9]
	v_add_f64 v[219:220], v[68:69], v[152:153]
	v_add_f64 v[221:222], v[68:69], v[164:165]
	v_fma_f64 v[158:159], v[132:133], s[6:7], v[78:79]
	v_fma_f64 v[162:163], v[134:135], s[50:51], v[148:149]
	v_mul_f64 v[164:165], v[130:131], s[26:27]
	v_add_f64 v[223:224], v[68:69], v[154:155]
	v_add_f64 v[225:226], v[68:69], v[166:167]
	v_mul_f64 v[166:167], v[120:121], s[22:23]
	v_add_f64 v[170:171], v[68:69], v[170:171]
	v_add_f64 v[179:180], v[70:71], v[179:180]
	;; [unrolled: 1-line block ×4, first 2 shown]
	v_fma_f64 v[160:161], v[126:127], s[8:9], v[215:216]
	v_fma_f64 v[162:163], v[124:125], s[44:45], v[217:218]
	v_mul_f64 v[168:169], v[128:129], s[14:15]
	v_add_f64 v[172:173], v[68:69], v[172:173]
	v_add_f64 v[174:175], v[68:69], v[174:175]
	;; [unrolled: 1-line block ×7, first 2 shown]
	v_fma_f64 v[158:159], v[116:117], s[14:15], v[164:165]
	v_fma_f64 v[160:161], v[118:119], s[58:59], v[168:169]
	v_mul_f64 v[162:163], v[122:123], s[28:29]
	v_add_f64 v[156:157], v[68:69], v[156:157]
	v_add_f64 v[195:196], v[70:71], v[195:196]
	;; [unrolled: 1-line block ×14, first 2 shown]
	v_fma_f64 v[154:155], v[112:113], s[22:23], v[162:163]
	v_fma_f64 v[158:159], v[102:103], s[46:47], v[166:167]
	v_mul_f64 v[160:161], v[114:115], s[30:31]
	v_mul_f64 v[181:182], v[100:101], s[24:25]
	v_add_f64 v[231:232], v[68:69], v[76:77]
	v_add_f64 v[233:234], v[70:71], v[150:151]
	v_fma_f64 v[68:69], v[132:133], s[6:7], -v[78:79]
	v_fma_f64 v[70:71], v[134:135], s[20:21], v[148:149]
	v_add_f64 v[76:77], v[154:155], v[144:145]
	v_add_f64 v[78:79], v[158:159], v[152:153]
	v_fma_f64 v[144:145], v[96:97], s[24:25], v[160:161]
	v_fma_f64 v[148:149], v[94:95], s[54:55], v[181:182]
	v_mul_f64 v[150:151], v[98:99], s[38:39]
	v_mul_f64 v[152:153], v[92:93], s[36:37]
	v_add_f64 v[68:69], v[68:69], v[170:171]
	v_add_f64 v[70:71], v[70:71], v[179:180]
	v_fma_f64 v[154:155], v[126:127], s[8:9], -v[215:216]
	v_fma_f64 v[158:159], v[124:125], s[18:19], v[217:218]
	v_add_f64 v[76:77], v[144:145], v[76:77]
	v_add_f64 v[78:79], v[148:149], v[78:79]
	;; [unrolled: 10-line block ×17, first 2 shown]
	v_fma_f64 v[164:165], v[80:81], s[36:37], v[183:184]
	v_fma_f64 v[166:167], v[82:83], s[48:49], v[185:186]
	v_mul_f64 v[187:188], v[142:143], s[40:41]
	v_mul_f64 v[191:192], v[140:141], s[34:35]
	v_add_f64 v[160:161], v[160:161], v[152:153]
	v_fma_f64 v[170:171], v[112:113], s[6:7], -v[170:171]
	v_add_f64 v[158:159], v[172:173], v[158:159]
	v_fma_f64 v[172:173], v[102:103], s[50:51], v[179:180]
	v_add_f64 v[152:153], v[164:165], v[162:163]
	v_add_f64 v[154:155], v[166:167], v[154:155]
	v_fma_f64 v[162:163], v[132:133], s[34:35], v[187:188]
	v_fma_f64 v[164:165], v[134:135], s[52:53], v[191:192]
	v_mul_f64 v[166:167], v[138:139], s[46:47]
	v_mul_f64 v[179:180], v[136:137], s[22:23]
	v_add_f64 v[160:161], v[170:171], v[160:161]
	v_fma_f64 v[170:171], v[96:97], s[4:5], -v[174:175]
	v_add_f64 v[158:159], v[172:173], v[158:159]
	v_fma_f64 v[172:173], v[94:95], s[16:17], v[215:216]
	v_add_f64 v[156:157], v[162:163], v[156:157]
	v_add_f64 v[162:163], v[164:165], v[195:196]
	;; [unrolled: 10-line block ×4, first 2 shown]
	v_fma_f64 v[172:173], v[112:113], s[8:9], v[174:175]
	v_fma_f64 v[183:184], v[102:103], s[44:45], v[181:182]
	v_mul_f64 v[185:186], v[114:115], s[38:39]
	v_mul_f64 v[215:216], v[100:101], s[36:37]
	v_add_f64 v[156:157], v[168:169], v[160:161]
	v_fma_f64 v[160:161], v[132:133], s[34:35], -v[187:188]
	v_fma_f64 v[168:169], v[134:135], s[40:41], v[191:192]
	v_add_f64 v[158:159], v[170:171], v[158:159]
	v_add_f64 v[164:165], v[172:173], v[164:165]
	;; [unrolled: 1-line block ×3, first 2 shown]
	v_fma_f64 v[170:171], v[96:97], s[36:37], v[185:186]
	v_fma_f64 v[172:173], v[94:95], s[48:49], v[215:216]
	v_mul_f64 v[183:184], v[98:99], s[54:55]
	v_mul_f64 v[187:188], v[92:93], s[24:25]
	v_add_f64 v[160:161], v[160:161], v[211:212]
	v_add_f64 v[168:169], v[168:169], v[189:190]
	v_fma_f64 v[166:167], v[126:127], s[22:23], -v[166:167]
	v_fma_f64 v[179:180], v[124:125], s[46:47], v[179:180]
	v_add_f64 v[164:165], v[170:171], v[164:165]
	v_add_f64 v[162:163], v[172:173], v[162:163]
	v_fma_f64 v[170:171], v[88:89], s[24:25], v[183:184]
	v_fma_f64 v[172:173], v[90:91], s[30:31], v[187:188]
	v_mul_f64 v[189:190], v[86:87], s[50:51]
	v_mul_f64 v[191:192], v[84:85], s[6:7]
	v_add_f64 v[160:161], v[166:167], v[160:161]
	v_add_f64 v[166:167], v[179:180], v[168:169]
	v_fma_f64 v[168:169], v[116:117], s[4:5], -v[195:196]
	v_fma_f64 v[179:180], v[118:119], s[42:43], v[209:210]
	v_add_f64 v[164:165], v[170:171], v[164:165]
	v_add_f64 v[162:163], v[172:173], v[162:163]
	v_fma_f64 v[170:171], v[80:81], s[6:7], v[189:190]
	v_fma_f64 v[172:173], v[82:83], s[20:21], v[191:192]
	v_mul_f64 v[195:196], v[142:143], s[48:49]
	v_mul_f64 v[209:210], v[140:141], s[36:37]
	v_add_f64 v[168:169], v[168:169], v[160:161]
	v_fma_f64 v[174:175], v[112:113], s[8:9], -v[174:175]
	v_add_f64 v[166:167], v[179:180], v[166:167]
	v_fma_f64 v[179:180], v[102:103], s[18:19], v[181:182]
	v_add_f64 v[160:161], v[170:171], v[164:165]
	v_add_f64 v[162:163], v[172:173], v[162:163]
	v_fma_f64 v[164:165], v[132:133], s[36:37], v[195:196]
	v_fma_f64 v[170:171], v[134:135], s[38:39], v[209:210]
	v_mul_f64 v[172:173], v[138:139], s[50:51]
	v_mul_f64 v[181:182], v[136:137], s[6:7]
	v_add_f64 v[168:169], v[174:175], v[168:169]
	v_fma_f64 v[174:175], v[96:97], s[36:37], -v[185:186]
	v_add_f64 v[166:167], v[179:180], v[166:167]
	v_fma_f64 v[179:180], v[94:95], s[38:39], v[215:216]
	v_add_f64 v[164:165], v[164:165], v[213:214]
	v_add_f64 v[170:171], v[170:171], v[199:200]
	v_fma_f64 v[185:186], v[126:127], s[6:7], v[172:173]
	v_fma_f64 v[199:200], v[124:125], s[20:21], v[181:182]
	v_mul_f64 v[211:212], v[130:131], s[18:19]
	v_mul_f64 v[213:214], v[128:129], s[8:9]
	v_add_f64 v[168:169], v[174:175], v[168:169]
	v_fma_f64 v[174:175], v[88:89], s[24:25], -v[183:184]
	v_add_f64 v[166:167], v[179:180], v[166:167]
	v_fma_f64 v[179:180], v[90:91], s[54:55], v[187:188]
	v_add_f64 v[164:165], v[185:186], v[164:165]
	v_add_f64 v[170:171], v[199:200], v[170:171]
	v_fma_f64 v[183:184], v[116:117], s[8:9], v[211:212]
	v_fma_f64 v[185:186], v[118:119], s[44:45], v[213:214]
	v_mul_f64 v[187:188], v[122:123], s[40:41]
	v_mul_f64 v[199:200], v[120:121], s[34:35]
	v_add_f64 v[168:169], v[174:175], v[168:169]
	v_fma_f64 v[174:175], v[80:81], s[6:7], -v[189:190]
	v_add_f64 v[166:167], v[179:180], v[166:167]
	v_fma_f64 v[179:180], v[82:83], s[50:51], v[191:192]
	v_add_f64 v[183:184], v[183:184], v[164:165]
	v_add_f64 v[170:171], v[185:186], v[170:171]
	v_fma_f64 v[185:186], v[112:113], s[34:35], v[187:188]
	v_fma_f64 v[189:190], v[102:103], s[52:53], v[199:200]
	v_mul_f64 v[191:192], v[114:115], s[58:59]
	v_mul_f64 v[215:216], v[100:101], s[14:15]
	v_add_f64 v[164:165], v[174:175], v[168:169]
	v_fma_f64 v[168:169], v[132:133], s[36:37], -v[195:196]
	v_fma_f64 v[174:175], v[134:135], s[48:49], v[209:210]
	v_add_f64 v[166:167], v[179:180], v[166:167]
	v_add_f64 v[179:180], v[185:186], v[183:184]
	v_add_f64 v[170:171], v[189:190], v[170:171]
	v_fma_f64 v[183:184], v[96:97], s[14:15], v[191:192]
	v_fma_f64 v[185:186], v[94:95], s[26:27], v[215:216]
	v_mul_f64 v[189:190], v[98:99], s[16:17]
	v_mul_f64 v[195:196], v[92:93], s[4:5]
	v_add_f64 v[168:169], v[168:169], v[219:220]
	v_add_f64 v[174:175], v[174:175], v[193:194]
	v_fma_f64 v[172:173], v[126:127], s[6:7], -v[172:173]
	v_fma_f64 v[181:182], v[124:125], s[50:51], v[181:182]
	v_add_f64 v[179:180], v[183:184], v[179:180]
	v_add_f64 v[170:171], v[185:186], v[170:171]
	v_fma_f64 v[183:184], v[88:89], s[4:5], v[189:190]
	v_fma_f64 v[185:186], v[90:91], s[42:43], v[195:196]
	v_mul_f64 v[193:194], v[86:87], s[30:31]
	v_mul_f64 v[209:210], v[84:85], s[24:25]
	v_add_f64 v[168:169], v[172:173], v[168:169]
	v_add_f64 v[172:173], v[181:182], v[174:175]
	v_fma_f64 v[174:175], v[116:117], s[8:9], -v[211:212]
	v_fma_f64 v[181:182], v[118:119], s[18:19], v[213:214]
	v_add_f64 v[179:180], v[183:184], v[179:180]
	v_add_f64 v[170:171], v[185:186], v[170:171]
	v_fma_f64 v[183:184], v[80:81], s[24:25], v[193:194]
	v_fma_f64 v[185:186], v[82:83], s[54:55], v[209:210]
	v_mul_f64 v[211:212], v[142:143], s[46:47]
	v_mul_f64 v[213:214], v[140:141], s[22:23]
	v_add_f64 v[174:175], v[174:175], v[168:169]
	v_add_f64 v[172:173], v[181:182], v[172:173]
	v_fma_f64 v[181:182], v[112:113], s[34:35], -v[187:188]
	v_fma_f64 v[187:188], v[102:103], s[40:41], v[199:200]
	v_add_f64 v[168:169], v[183:184], v[179:180]
	v_add_f64 v[170:171], v[185:186], v[170:171]
	v_fma_f64 v[179:180], v[132:133], s[22:23], v[211:212]
	v_fma_f64 v[183:184], v[134:135], s[28:29], v[213:214]
	v_mul_f64 v[185:186], v[138:139], s[16:17]
	v_mul_f64 v[199:200], v[136:137], s[4:5]
	v_add_f64 v[174:175], v[181:182], v[174:175]
	v_add_f64 v[172:173], v[187:188], v[172:173]
	v_fma_f64 v[181:182], v[96:97], s[14:15], -v[191:192]
	v_fma_f64 v[187:188], v[94:95], s[58:59], v[215:216]
	v_add_f64 v[179:180], v[179:180], v[221:222]
	v_add_f64 v[183:184], v[183:184], v[203:204]
	v_fma_f64 v[191:192], v[126:127], s[4:5], v[185:186]
	v_fma_f64 v[203:204], v[124:125], s[42:43], v[199:200]
	v_mul_f64 v[215:216], v[130:131], s[38:39]
	v_mul_f64 v[217:218], v[128:129], s[36:37]
	v_add_f64 v[174:175], v[181:182], v[174:175]
	v_add_f64 v[172:173], v[187:188], v[172:173]
	v_fma_f64 v[181:182], v[88:89], s[4:5], -v[189:190]
	v_fma_f64 v[187:188], v[90:91], s[16:17], v[195:196]
	v_add_f64 v[179:180], v[191:192], v[179:180]
	v_add_f64 v[183:184], v[203:204], v[183:184]
	v_fma_f64 v[189:190], v[116:117], s[36:37], v[215:216]
	v_fma_f64 v[191:192], v[118:119], s[48:49], v[217:218]
	v_mul_f64 v[195:196], v[122:123], s[58:59]
	v_mul_f64 v[203:204], v[120:121], s[14:15]
	v_add_f64 v[174:175], v[181:182], v[174:175]
	v_add_f64 v[181:182], v[187:188], v[172:173]
	v_fma_f64 v[172:173], v[80:81], s[24:25], -v[193:194]
	v_fma_f64 v[187:188], v[82:83], s[30:31], v[209:210]
	v_add_f64 v[179:180], v[189:190], v[179:180]
	v_add_f64 v[183:184], v[191:192], v[183:184]
	v_fma_f64 v[189:190], v[112:113], s[14:15], v[195:196]
	v_fma_f64 v[191:192], v[102:103], s[26:27], v[203:204]
	v_mul_f64 v[193:194], v[114:115], s[20:21]
	v_mul_f64 v[209:210], v[100:101], s[6:7]
	v_add_f64 v[172:173], v[172:173], v[174:175]
	v_add_f64 v[174:175], v[187:188], v[181:182]
	v_fma_f64 v[181:182], v[132:133], s[22:23], -v[211:212]
	v_fma_f64 v[187:188], v[134:135], s[46:47], v[213:214]
	v_add_f64 v[179:180], v[189:190], v[179:180]
	v_add_f64 v[183:184], v[191:192], v[183:184]
	v_fma_f64 v[189:190], v[96:97], s[6:7], v[193:194]
	v_fma_f64 v[191:192], v[94:95], s[50:51], v[209:210]
	v_mul_f64 v[211:212], v[98:99], s[40:41]
	v_mul_f64 v[213:214], v[92:93], s[34:35]
	v_add_f64 v[181:182], v[181:182], v[223:224]
	v_add_f64 v[187:188], v[187:188], v[197:198]
	v_fma_f64 v[185:186], v[126:127], s[4:5], -v[185:186]
	v_fma_f64 v[197:198], v[124:125], s[16:17], v[199:200]
	v_add_f64 v[179:180], v[189:190], v[179:180]
	v_add_f64 v[183:184], v[191:192], v[183:184]
	v_fma_f64 v[189:190], v[88:89], s[34:35], v[211:212]
	v_fma_f64 v[191:192], v[90:91], s[52:53], v[213:214]
	v_mul_f64 v[199:200], v[86:87], s[44:45]
	v_mul_f64 v[219:220], v[84:85], s[8:9]
	v_add_f64 v[181:182], v[185:186], v[181:182]
	v_add_f64 v[185:186], v[197:198], v[187:188]
	v_fma_f64 v[187:188], v[116:117], s[36:37], -v[215:216]
	v_fma_f64 v[197:198], v[118:119], s[38:39], v[217:218]
	v_add_f64 v[179:180], v[189:190], v[179:180]
	v_add_f64 v[183:184], v[191:192], v[183:184]
	v_fma_f64 v[189:190], v[80:81], s[8:9], v[199:200]
	v_fma_f64 v[191:192], v[82:83], s[18:19], v[219:220]
	v_mul_f64 v[215:216], v[142:143], s[44:45]
	v_mul_f64 v[217:218], v[140:141], s[8:9]
	v_add_f64 v[187:188], v[187:188], v[181:182]
	v_add_f64 v[185:186], v[197:198], v[185:186]
	v_fma_f64 v[195:196], v[112:113], s[14:15], -v[195:196]
	v_fma_f64 v[197:198], v[102:103], s[58:59], v[203:204]
	v_add_f64 v[179:180], v[189:190], v[179:180]
	v_add_f64 v[181:182], v[191:192], v[183:184]
	v_fma_f64 v[183:184], v[132:133], s[8:9], v[215:216]
	v_fma_f64 v[189:190], v[134:135], s[18:19], v[217:218]
	v_mul_f64 v[191:192], v[138:139], s[26:27]
	v_mul_f64 v[203:204], v[136:137], s[14:15]
	v_add_f64 v[187:188], v[195:196], v[187:188]
	v_add_f64 v[185:186], v[197:198], v[185:186]
	v_fma_f64 v[195:196], v[94:95], s[20:21], v[209:210]
	v_fma_f64 v[193:194], v[96:97], s[6:7], -v[193:194]
	v_add_f64 v[183:184], v[183:184], v[225:226]
	v_add_f64 v[189:190], v[189:190], v[205:206]
	v_fma_f64 v[197:198], v[126:127], s[14:15], v[191:192]
	v_fma_f64 v[205:206], v[124:125], s[58:59], v[203:204]
	v_mul_f64 v[209:210], v[130:131], s[54:55]
	v_mul_f64 v[221:222], v[128:129], s[24:25]
	v_add_f64 v[185:186], v[195:196], v[185:186]
	v_fma_f64 v[195:196], v[90:91], s[40:41], v[213:214]
	v_add_f64 v[187:188], v[193:194], v[187:188]
	v_fma_f64 v[193:194], v[88:89], s[34:35], -v[211:212]
	v_add_f64 v[183:184], v[197:198], v[183:184]
	v_add_f64 v[189:190], v[205:206], v[189:190]
	v_fma_f64 v[197:198], v[116:117], s[24:25], v[209:210]
	v_fma_f64 v[205:206], v[118:119], s[30:31], v[221:222]
	v_mul_f64 v[211:212], v[122:123], s[16:17]
	v_mul_f64 v[213:214], v[120:121], s[4:5]
	v_add_f64 v[185:186], v[195:196], v[185:186]
	v_fma_f64 v[195:196], v[132:133], s[8:9], -v[215:216]
	v_add_f64 v[187:188], v[193:194], v[187:188]
	v_fma_f64 v[193:194], v[80:81], s[8:9], -v[199:200]
	v_add_f64 v[183:184], v[197:198], v[183:184]
	v_add_f64 v[189:190], v[205:206], v[189:190]
	v_fma_f64 v[197:198], v[112:113], s[4:5], v[211:212]
	v_fma_f64 v[199:200], v[102:103], s[42:43], v[213:214]
	v_mul_f64 v[205:206], v[114:115], s[40:41]
	v_mul_f64 v[215:216], v[100:101], s[34:35]
	v_add_f64 v[195:196], v[195:196], v[227:228]
	v_fma_f64 v[217:218], v[134:135], s[44:45], v[217:218]
	v_fma_f64 v[191:192], v[126:127], s[14:15], -v[191:192]
	v_mul_f64 v[225:226], v[92:93], s[6:7]
	v_add_f64 v[183:184], v[197:198], v[183:184]
	v_add_f64 v[189:190], v[199:200], v[189:190]
	v_fma_f64 v[197:198], v[96:97], s[34:35], v[205:206]
	v_fma_f64 v[199:200], v[94:95], s[52:53], v[215:216]
	v_mul_f64 v[142:143], v[142:143], s[42:43]
	v_add_f64 v[201:202], v[217:218], v[201:202]
	v_add_f64 v[191:192], v[191:192], v[195:196]
	v_fma_f64 v[195:196], v[124:125], s[26:27], v[203:204]
	v_fma_f64 v[203:204], v[116:117], s[24:25], -v[209:210]
	v_fma_f64 v[209:210], v[90:91], s[20:21], v[225:226]
	v_add_f64 v[197:198], v[197:198], v[183:184]
	v_add_f64 v[189:190], v[199:200], v[189:190]
	;; [unrolled: 1-line block ×3, first 2 shown]
	v_fma_f64 v[193:194], v[118:119], s[54:55], v[221:222]
	v_mul_f64 v[140:141], v[140:141], s[4:5]
	v_add_f64 v[187:188], v[195:196], v[201:202]
	v_add_f64 v[191:192], v[203:204], v[191:192]
	v_fma_f64 v[195:196], v[112:113], s[4:5], -v[211:212]
	v_mul_f64 v[138:139], v[138:139], s[38:39]
	v_add_f64 v[189:190], v[209:210], v[189:190]
	v_mul_f64 v[136:137], v[136:137], s[36:37]
	v_mul_f64 v[130:131], v[130:131], s[50:51]
	v_fma_f64 v[209:210], v[134:135], s[16:17], v[140:141]
	v_add_f64 v[187:188], v[193:194], v[187:188]
	v_fma_f64 v[193:194], v[102:103], s[16:17], v[213:214]
	v_add_f64 v[191:192], v[195:196], v[191:192]
	v_fma_f64 v[195:196], v[96:97], s[34:35], -v[205:206]
	v_fma_f64 v[205:206], v[132:133], s[4:5], v[142:143]
	v_fma_f64 v[132:133], v[132:133], s[4:5], -v[142:143]
	v_fma_f64 v[134:135], v[134:135], s[42:43], v[140:141]
	v_mul_f64 v[128:129], v[128:129], s[6:7]
	v_mul_f64 v[122:123], v[122:123], s[30:31]
	v_add_f64 v[187:188], v[193:194], v[187:188]
	v_fma_f64 v[193:194], v[94:95], s[40:41], v[215:216]
	v_add_f64 v[191:192], v[195:196], v[191:192]
	v_add_f64 v[195:196], v[205:206], v[229:230]
	;; [unrolled: 1-line block ×3, first 2 shown]
	v_fma_f64 v[207:208], v[126:127], s[36:37], v[138:139]
	v_fma_f64 v[209:210], v[124:125], s[48:49], v[136:137]
	v_add_f64 v[132:133], v[132:133], v[231:232]
	v_fma_f64 v[126:127], v[126:127], s[36:37], -v[138:139]
	v_add_f64 v[134:135], v[134:135], v[233:234]
	v_fma_f64 v[124:125], v[124:125], s[38:39], v[136:137]
	v_add_f64 v[142:143], v[193:194], v[187:188]
	v_mul_f64 v[120:121], v[120:121], s[24:25]
	v_add_f64 v[140:141], v[207:208], v[195:196]
	v_add_f64 v[193:194], v[209:210], v[205:206]
	v_fma_f64 v[195:196], v[116:117], s[6:7], v[130:131]
	v_fma_f64 v[205:206], v[118:119], s[20:21], v[128:129]
	v_add_f64 v[126:127], v[126:127], v[132:133]
	v_fma_f64 v[116:117], v[116:117], s[6:7], -v[130:131]
	v_add_f64 v[124:125], v[124:125], v[134:135]
	v_fma_f64 v[118:119], v[118:119], s[50:51], v[128:129]
	v_mul_f64 v[223:224], v[98:99], s[50:51]
	v_fma_f64 v[130:131], v[112:113], s[24:25], v[122:123]
	v_add_f64 v[138:139], v[195:196], v[140:141]
	v_add_f64 v[140:141], v[205:206], v[193:194]
	v_fma_f64 v[132:133], v[102:103], s[54:55], v[120:121]
	v_mul_f64 v[114:115], v[114:115], s[44:45]
	v_mul_f64 v[100:101], v[100:101], s[8:9]
	v_add_f64 v[116:117], v[116:117], v[126:127]
	v_fma_f64 v[112:113], v[112:113], s[24:25], -v[122:123]
	v_add_f64 v[118:119], v[118:119], v[124:125]
	v_fma_f64 v[102:103], v[102:103], s[30:31], v[120:121]
	v_fma_f64 v[199:200], v[88:89], s[6:7], v[223:224]
	v_add_f64 v[122:123], v[130:131], v[138:139]
	v_add_f64 v[126:127], v[132:133], v[140:141]
	v_fma_f64 v[130:131], v[96:97], s[8:9], v[114:115]
	v_mul_f64 v[98:99], v[98:99], s[28:29]
	v_fma_f64 v[120:121], v[94:95], s[18:19], v[100:101]
	v_add_f64 v[112:113], v[112:113], v[116:117]
	v_fma_f64 v[96:97], v[96:97], s[8:9], -v[114:115]
	v_mul_f64 v[92:93], v[92:93], s[22:23]
	v_add_f64 v[102:103], v[102:103], v[118:119]
	v_fma_f64 v[94:95], v[94:95], s[44:45], v[100:101]
	v_add_f64 v[197:198], v[199:200], v[197:198]
	v_mul_f64 v[199:200], v[86:87], s[28:29]
	v_mul_f64 v[201:202], v[84:85], s[22:23]
	v_fma_f64 v[187:188], v[88:89], s[6:7], -v[223:224]
	v_add_f64 v[116:117], v[130:131], v[122:123]
	v_fma_f64 v[100:101], v[88:89], s[22:23], v[98:99]
	v_add_f64 v[118:119], v[120:121], v[126:127]
	v_add_f64 v[96:97], v[96:97], v[112:113]
	v_fma_f64 v[88:89], v[88:89], s[22:23], -v[98:99]
	v_fma_f64 v[98:99], v[90:91], s[46:47], v[92:93]
	v_mul_f64 v[86:87], v[86:87], s[58:59]
	v_fma_f64 v[128:129], v[90:91], s[50:51], v[225:226]
	v_mul_f64 v[84:85], v[84:85], s[14:15]
	v_add_f64 v[94:95], v[94:95], v[102:103]
	v_fma_f64 v[90:91], v[90:91], s[28:29], v[92:93]
	v_fma_f64 v[203:204], v[80:81], s[22:23], v[199:200]
	;; [unrolled: 1-line block ×3, first 2 shown]
	v_add_f64 v[92:93], v[100:101], v[116:117]
	v_add_f64 v[98:99], v[98:99], v[118:119]
	v_fma_f64 v[112:113], v[80:81], s[14:15], v[86:87]
	v_add_f64 v[96:97], v[88:89], v[96:97]
	v_fma_f64 v[118:119], v[80:81], s[14:15], -v[86:87]
	v_fma_f64 v[219:220], v[82:83], s[44:45], v[219:220]
	v_add_f64 v[136:137], v[187:188], v[191:192]
	v_add_f64 v[114:115], v[128:129], v[142:143]
	v_fma_f64 v[100:101], v[80:81], s[22:23], -v[199:200]
	v_fma_f64 v[102:103], v[82:83], s[28:29], v[201:202]
	v_fma_f64 v[116:117], v[82:83], s[26:27], v[84:85]
	v_add_f64 v[94:95], v[90:91], v[94:95]
	v_fma_f64 v[120:121], v[82:83], s[58:59], v[84:85]
	ds_read_b128 v[36:39], v109 offset:6032
	ds_read_b128 v[24:27], v109 offset:6416
	s_movk_i32 s0, 0x110
	v_add_f64 v[80:81], v[203:204], v[197:198]
	v_add_f64 v[82:83], v[211:212], v[189:190]
	;; [unrolled: 1-line block ×4, first 2 shown]
	v_mad_u32_u24 v96, v106, s0, v176
	v_cmp_gt_u32_e64 s[0:1], 7, v106
	v_add_f64 v[185:186], v[219:220], v[185:186]
	v_add_f64 v[84:85], v[100:101], v[136:137]
	;; [unrolled: 1-line block ×5, first 2 shown]
	s_waitcnt lgkmcnt(0)
	; wave barrier
	s_waitcnt lgkmcnt(0)
	ds_write_b128 v96, v[72:75]
	ds_write_b128 v96, v[76:79] offset:16
	ds_write_b128 v96, v[144:147] offset:32
	;; [unrolled: 1-line block ×16, first 2 shown]
	s_and_saveexec_b64 s[56:57], s[0:1]
	s_cbranch_execz .LBB0_14
; %bb.13:
	v_add_f64 v[174:175], v[4:5], -v[24:25]
	v_add_f64 v[172:173], v[8:9], -v[36:37]
	v_add_f64 v[126:127], v[6:7], v[26:27]
	v_add_f64 v[160:161], v[12:13], -v[32:33]
	v_add_f64 v[124:125], v[10:11], v[38:39]
	;; [unrolled: 2-line block ×3, first 2 shown]
	v_add_f64 v[120:121], v[18:19], v[30:31]
	v_mul_f64 v[68:69], v[174:175], s[40:41]
	v_mul_f64 v[70:71], v[172:173], s[42:43]
	v_add_f64 v[164:165], v[6:7], -v[26:27]
	v_mul_f64 v[74:75], v[160:161], s[38:39]
	v_add_f64 v[146:147], v[20:21], -v[52:53]
	v_mul_f64 v[78:79], v[154:155], s[50:51]
	v_add_f64 v[162:163], v[10:11], -v[38:39]
	v_add_f64 v[158:159], v[4:5], v[24:25]
	v_fma_f64 v[72:73], v[126:127], s[34:35], v[68:69]
	v_fma_f64 v[76:77], v[124:125], s[4:5], v[70:71]
	v_add_f64 v[136:137], v[40:41], -v[48:49]
	v_fma_f64 v[80:81], v[122:123], s[36:37], v[74:75]
	v_add_f64 v[118:119], v[22:23], v[54:55]
	v_fma_f64 v[82:83], v[120:121], s[6:7], v[78:79]
	v_add_f64 v[156:157], v[14:15], -v[34:35]
	v_add_f64 v[152:153], v[8:9], v[36:37]
	v_add_f64 v[72:73], v[2:3], v[72:73]
	v_mul_f64 v[92:93], v[162:163], s[42:43]
	v_fma_f64 v[68:69], v[126:127], s[34:35], -v[68:69]
	v_add_f64 v[134:135], v[60:61], -v[44:45]
	v_add_f64 v[116:117], v[42:43], v[50:51]
	v_add_f64 v[150:151], v[18:19], -v[30:31]
	v_add_f64 v[138:139], v[12:13], v[32:33]
	v_mul_f64 v[88:89], v[136:137], s[44:45]
	v_add_f64 v[72:73], v[76:77], v[72:73]
	v_mul_f64 v[76:77], v[146:147], s[30:31]
	v_mul_f64 v[98:99], v[156:157], s[38:39]
	v_fma_f64 v[102:103], v[152:153], s[4:5], -v[92:93]
	v_fma_f64 v[70:71], v[124:125], s[4:5], -v[70:71]
	v_add_f64 v[68:69], v[2:3], v[68:69]
	v_add_f64 v[114:115], v[62:63], v[46:47]
	v_add_f64 v[148:149], v[22:23], -v[54:55]
	v_add_f64 v[72:73], v[80:81], v[72:73]
	v_mul_f64 v[80:81], v[164:165], s[40:41]
	v_fma_f64 v[94:95], v[118:119], s[24:25], v[76:77]
	v_add_f64 v[132:133], v[16:17], v[28:29]
	v_mul_f64 v[86:87], v[134:135], s[28:29]
	v_mul_f64 v[96:97], v[150:151], s[50:51]
	v_fma_f64 v[100:101], v[116:117], s[8:9], v[88:89]
	v_fma_f64 v[166:167], v[138:139], s[36:37], -v[98:99]
	v_add_f64 v[72:73], v[82:83], v[72:73]
	v_fma_f64 v[82:83], v[158:159], s[34:35], -v[80:81]
	v_fma_f64 v[80:81], v[158:159], s[34:35], v[80:81]
	v_fma_f64 v[92:93], v[152:153], s[4:5], v[92:93]
	v_fma_f64 v[74:75], v[122:123], s[36:37], -v[74:75]
	v_add_f64 v[68:69], v[70:71], v[68:69]
	v_add_f64 v[144:145], v[42:43], -v[50:51]
	v_add_f64 v[128:129], v[20:21], v[52:53]
	v_add_f64 v[72:73], v[94:95], v[72:73]
	;; [unrolled: 1-line block ×4, first 2 shown]
	v_mul_f64 v[90:91], v[148:149], s[30:31]
	v_fma_f64 v[94:95], v[114:115], s[22:23], v[86:87]
	v_fma_f64 v[98:99], v[138:139], s[36:37], v[98:99]
	v_fma_f64 v[78:79], v[120:121], s[6:7], -v[78:79]
	v_add_f64 v[68:69], v[74:75], v[68:69]
	v_add_f64 v[72:73], v[100:101], v[72:73]
	v_add_f64 v[82:83], v[102:103], v[82:83]
	v_fma_f64 v[100:101], v[132:133], s[6:7], -v[96:97]
	v_add_f64 v[80:81], v[92:93], v[80:81]
	v_add_f64 v[142:143], v[62:63], -v[46:47]
	v_add_f64 v[170:171], v[40:41], v[48:49]
	v_mul_f64 v[74:75], v[144:145], s[44:45]
	v_fma_f64 v[92:93], v[128:129], s[24:25], -v[90:91]
	v_add_f64 v[72:73], v[94:95], v[72:73]
	v_add_f64 v[82:83], v[166:167], v[82:83]
	v_fma_f64 v[94:95], v[132:133], s[6:7], v[96:97]
	v_add_f64 v[80:81], v[98:99], v[80:81]
	v_fma_f64 v[76:77], v[118:119], s[24:25], -v[76:77]
	v_add_f64 v[68:69], v[78:79], v[68:69]
	v_add_f64 v[130:131], v[64:65], -v[56:57]
	v_add_f64 v[168:169], v[60:61], v[44:45]
	v_mul_f64 v[78:79], v[142:143], s[28:29]
	v_add_f64 v[82:83], v[100:101], v[82:83]
	v_fma_f64 v[96:97], v[170:171], s[8:9], -v[74:75]
	v_fma_f64 v[90:91], v[128:129], s[24:25], v[90:91]
	v_add_f64 v[80:81], v[94:95], v[80:81]
	v_fma_f64 v[88:89], v[116:117], s[8:9], -v[88:89]
	v_add_f64 v[68:69], v[76:77], v[68:69]
	v_add_f64 v[112:113], v[66:67], v[58:59]
	v_mul_f64 v[84:85], v[130:131], s[58:59]
	v_add_f64 v[82:83], v[92:93], v[82:83]
	v_fma_f64 v[92:93], v[168:169], s[22:23], -v[78:79]
	v_fma_f64 v[74:75], v[170:171], s[8:9], v[74:75]
	v_add_f64 v[80:81], v[90:91], v[80:81]
	v_fma_f64 v[86:87], v[114:115], s[22:23], -v[86:87]
	v_add_f64 v[68:69], v[88:89], v[68:69]
	v_mul_f64 v[94:95], v[172:173], s[44:45]
	v_fma_f64 v[70:71], v[112:113], s[14:15], v[84:85]
	v_add_f64 v[82:83], v[96:97], v[82:83]
	v_mul_f64 v[102:103], v[160:161], s[26:27]
	v_mul_f64 v[181:182], v[162:163], s[44:45]
	v_add_f64 v[74:75], v[74:75], v[80:81]
	v_fma_f64 v[78:79], v[168:169], s[22:23], v[78:79]
	v_mul_f64 v[187:188], v[154:155], s[54:55]
	v_fma_f64 v[185:186], v[124:125], s[8:9], v[94:95]
	v_mul_f64 v[191:192], v[156:157], s[26:27]
	v_add_f64 v[80:81], v[92:93], v[82:83]
	v_fma_f64 v[82:83], v[112:113], s[14:15], -v[84:85]
	v_add_f64 v[84:85], v[86:87], v[68:69]
	v_mul_f64 v[86:87], v[174:175], s[38:39]
	v_mul_f64 v[92:93], v[164:165], s[38:39]
	v_fma_f64 v[189:190], v[122:123], s[14:15], v[102:103]
	v_fma_f64 v[193:194], v[152:153], s[8:9], -v[181:182]
	v_fma_f64 v[94:95], v[124:125], s[8:9], -v[94:95]
	v_add_f64 v[74:75], v[78:79], v[74:75]
	v_mul_f64 v[78:79], v[146:147], s[16:17]
	v_mul_f64 v[195:196], v[150:151], s[54:55]
	v_fma_f64 v[98:99], v[126:127], s[36:37], v[86:87]
	v_fma_f64 v[183:184], v[158:159], s[36:37], -v[92:93]
	v_fma_f64 v[86:87], v[126:127], s[36:37], -v[86:87]
	v_fma_f64 v[92:93], v[158:159], s[36:37], v[92:93]
	v_fma_f64 v[197:198], v[138:139], s[14:15], -v[191:192]
	v_fma_f64 v[102:103], v[122:123], s[14:15], -v[102:103]
	v_fma_f64 v[181:182], v[152:153], s[8:9], v[181:182]
	v_mul_f64 v[88:89], v[136:137], s[40:41]
	v_add_f64 v[98:99], v[2:3], v[98:99]
	v_add_f64 v[183:184], v[0:1], v[183:184]
	;; [unrolled: 1-line block ×4, first 2 shown]
	v_fma_f64 v[179:180], v[118:119], s[4:5], v[78:79]
	v_fma_f64 v[191:192], v[138:139], s[14:15], v[191:192]
	v_add_f64 v[140:141], v[66:67], -v[58:59]
	v_mul_f64 v[68:69], v[134:135], s[50:51]
	v_add_f64 v[98:99], v[185:186], v[98:99]
	v_fma_f64 v[185:186], v[120:121], s[24:25], v[187:188]
	v_add_f64 v[183:184], v[193:194], v[183:184]
	v_add_f64 v[86:87], v[94:95], v[86:87]
	v_fma_f64 v[187:188], v[120:121], s[24:25], -v[187:188]
	v_add_f64 v[92:93], v[181:182], v[92:93]
	v_fma_f64 v[100:101], v[116:117], s[34:35], v[88:89]
	v_fma_f64 v[78:79], v[118:119], s[4:5], -v[78:79]
	v_add_f64 v[94:95], v[189:190], v[98:99]
	v_mul_f64 v[98:99], v[148:149], s[16:17]
	v_fma_f64 v[189:190], v[132:133], s[24:25], -v[195:196]
	v_add_f64 v[183:184], v[197:198], v[183:184]
	v_add_f64 v[86:87], v[102:103], v[86:87]
	v_mul_f64 v[102:103], v[144:145], s[40:41]
	v_add_f64 v[92:93], v[191:192], v[92:93]
	v_add_f64 v[166:167], v[64:65], v[56:57]
	;; [unrolled: 1-line block ×3, first 2 shown]
	v_fma_f64 v[185:186], v[128:129], s[4:5], -v[98:99]
	v_mul_f64 v[76:77], v[140:141], s[58:59]
	v_add_f64 v[181:182], v[189:190], v[183:184]
	v_add_f64 v[86:87], v[187:188], v[86:87]
	v_fma_f64 v[187:188], v[132:133], s[24:25], v[195:196]
	v_mul_f64 v[90:91], v[130:131], s[28:29]
	v_fma_f64 v[96:97], v[114:115], s[6:7], v[68:69]
	v_add_f64 v[94:95], v[179:180], v[94:95]
	v_mul_f64 v[179:180], v[142:143], s[50:51]
	v_fma_f64 v[183:184], v[170:171], s[34:35], -v[102:103]
	v_add_f64 v[181:182], v[185:186], v[181:182]
	v_fma_f64 v[88:89], v[116:117], s[34:35], -v[88:89]
	v_add_f64 v[78:79], v[78:79], v[86:87]
	v_fma_f64 v[98:99], v[128:129], s[4:5], v[98:99]
	v_add_f64 v[92:93], v[187:188], v[92:93]
	v_add_f64 v[86:87], v[100:101], v[94:95]
	;; [unrolled: 1-line block ×3, first 2 shown]
	v_fma_f64 v[72:73], v[166:167], s[14:15], -v[76:77]
	v_fma_f64 v[76:77], v[166:167], s[14:15], v[76:77]
	v_mul_f64 v[94:95], v[140:141], s[28:29]
	v_fma_f64 v[100:101], v[168:169], s[6:7], -v[179:180]
	v_add_f64 v[181:182], v[183:184], v[181:182]
	v_fma_f64 v[68:69], v[114:115], s[6:7], -v[68:69]
	v_add_f64 v[78:79], v[88:89], v[78:79]
	v_fma_f64 v[88:89], v[112:113], s[22:23], v[90:91]
	v_add_f64 v[86:87], v[96:97], v[86:87]
	v_fma_f64 v[102:103], v[170:171], s[34:35], v[102:103]
	v_add_f64 v[92:93], v[98:99], v[92:93]
	v_fma_f64 v[96:97], v[166:167], s[22:23], -v[94:95]
	v_add_f64 v[98:99], v[100:101], v[181:182]
	v_add_f64 v[76:77], v[76:77], v[74:75]
	;; [unrolled: 1-line block ×5, first 2 shown]
	v_fma_f64 v[80:81], v[168:169], s[6:7], v[179:180]
	v_add_f64 v[84:85], v[102:103], v[92:93]
	v_add_f64 v[74:75], v[88:89], v[86:87]
	v_mul_f64 v[86:87], v[174:175], s[30:31]
	v_add_f64 v[72:73], v[96:97], v[98:99]
	v_mul_f64 v[96:97], v[172:173], s[46:47]
	v_mul_f64 v[181:182], v[162:163], s[46:47]
	;; [unrolled: 1-line block ×4, first 2 shown]
	v_add_f64 v[80:81], v[80:81], v[84:85]
	v_mul_f64 v[84:85], v[164:165], s[30:31]
	v_fma_f64 v[98:99], v[126:127], s[24:25], v[86:87]
	v_mul_f64 v[193:194], v[156:157], s[16:17]
	v_fma_f64 v[187:188], v[124:125], s[22:23], v[96:97]
	v_fma_f64 v[195:196], v[152:153], s[22:23], -v[181:182]
	v_fma_f64 v[197:198], v[122:123], s[4:5], v[185:186]
	v_fma_f64 v[86:87], v[126:127], s[24:25], -v[86:87]
	v_mul_f64 v[102:103], v[146:147], s[58:59]
	v_fma_f64 v[183:184], v[158:159], s[24:25], -v[84:85]
	v_add_f64 v[98:99], v[2:3], v[98:99]
	v_mul_f64 v[199:200], v[150:151], s[38:39]
	v_fma_f64 v[201:202], v[138:139], s[4:5], -v[193:194]
	v_fma_f64 v[84:85], v[158:159], s[24:25], v[84:85]
	v_fma_f64 v[96:97], v[124:125], s[22:23], -v[96:97]
	v_add_f64 v[86:87], v[2:3], v[86:87]
	v_mul_f64 v[92:93], v[136:137], s[20:21]
	v_add_f64 v[183:184], v[0:1], v[183:184]
	v_add_f64 v[98:99], v[187:188], v[98:99]
	v_fma_f64 v[187:188], v[120:121], s[36:37], v[189:190]
	v_fma_f64 v[191:192], v[118:119], s[14:15], v[102:103]
	;; [unrolled: 1-line block ×3, first 2 shown]
	v_add_f64 v[84:85], v[0:1], v[84:85]
	v_fma_f64 v[185:186], v[122:123], s[4:5], -v[185:186]
	v_add_f64 v[86:87], v[96:97], v[86:87]
	v_add_f64 v[183:184], v[195:196], v[183:184]
	;; [unrolled: 1-line block ×3, first 2 shown]
	v_mul_f64 v[195:196], v[148:149], s[58:59]
	v_fma_f64 v[197:198], v[132:133], s[36:37], -v[199:200]
	v_fma_f64 v[90:91], v[112:113], s[22:23], -v[90:91]
	v_mul_f64 v[88:89], v[134:135], s[40:41]
	v_fma_f64 v[179:180], v[116:117], s[6:7], v[92:93]
	v_fma_f64 v[193:194], v[138:139], s[4:5], v[193:194]
	v_add_f64 v[183:184], v[201:202], v[183:184]
	v_add_f64 v[96:97], v[187:188], v[98:99]
	v_mul_f64 v[98:99], v[144:145], s[20:21]
	v_fma_f64 v[187:188], v[128:129], s[14:15], -v[195:196]
	v_add_f64 v[84:85], v[181:182], v[84:85]
	v_add_f64 v[86:87], v[185:186], v[86:87]
	;; [unrolled: 1-line block ×3, first 2 shown]
	v_fma_f64 v[90:91], v[166:167], s[22:23], v[94:95]
	v_add_f64 v[181:182], v[197:198], v[183:184]
	v_fma_f64 v[183:184], v[120:121], s[36:37], -v[189:190]
	v_add_f64 v[96:97], v[191:192], v[96:97]
	v_mul_f64 v[94:95], v[130:131], s[44:45]
	v_fma_f64 v[100:101], v[114:115], s[34:35], v[88:89]
	v_mul_f64 v[185:186], v[142:143], s[40:41]
	v_fma_f64 v[189:190], v[170:171], s[6:7], -v[98:99]
	v_fma_f64 v[191:192], v[132:133], s[36:37], v[199:200]
	v_add_f64 v[84:85], v[193:194], v[84:85]
	v_add_f64 v[181:182], v[187:188], v[181:182]
	v_fma_f64 v[102:103], v[118:119], s[14:15], -v[102:103]
	v_add_f64 v[86:87], v[183:184], v[86:87]
	v_add_f64 v[96:97], v[179:180], v[96:97]
	v_mul_f64 v[179:180], v[140:141], s[44:45]
	v_fma_f64 v[183:184], v[168:169], s[34:35], -v[185:186]
	v_fma_f64 v[187:188], v[128:129], s[14:15], v[195:196]
	v_add_f64 v[84:85], v[191:192], v[84:85]
	v_add_f64 v[181:182], v[189:190], v[181:182]
	v_fma_f64 v[92:93], v[116:117], s[6:7], -v[92:93]
	v_add_f64 v[86:87], v[102:103], v[86:87]
	v_fma_f64 v[102:103], v[112:113], s[8:9], v[94:95]
	v_add_f64 v[96:97], v[100:101], v[96:97]
	v_fma_f64 v[100:101], v[166:167], s[8:9], -v[179:180]
	v_fma_f64 v[98:99], v[170:171], s[6:7], v[98:99]
	v_add_f64 v[84:85], v[187:188], v[84:85]
	v_add_f64 v[181:182], v[183:184], v[181:182]
	v_fma_f64 v[88:89], v[114:115], s[34:35], -v[88:89]
	v_add_f64 v[92:93], v[92:93], v[86:87]
	v_add_f64 v[80:81], v[90:91], v[80:81]
	;; [unrolled: 1-line block ×3, first 2 shown]
	v_mul_f64 v[96:97], v[174:175], s[28:29]
	v_fma_f64 v[90:91], v[168:169], s[34:35], v[185:186]
	v_add_f64 v[98:99], v[98:99], v[84:85]
	v_add_f64 v[84:85], v[100:101], v[181:182]
	v_mul_f64 v[100:101], v[172:173], s[48:49]
	v_add_f64 v[88:89], v[88:89], v[92:93]
	v_mul_f64 v[92:93], v[164:165], s[28:29]
	v_fma_f64 v[102:103], v[166:167], s[8:9], v[179:180]
	v_fma_f64 v[179:180], v[126:127], s[22:23], v[96:97]
	v_fma_f64 v[96:97], v[126:127], s[22:23], -v[96:97]
	v_add_f64 v[90:91], v[90:91], v[98:99]
	v_mul_f64 v[98:99], v[160:161], s[50:51]
	v_mul_f64 v[183:184], v[162:163], s[48:49]
	v_fma_f64 v[187:188], v[124:125], s[36:37], v[100:101]
	v_fma_f64 v[185:186], v[158:159], s[22:23], -v[92:93]
	v_fma_f64 v[100:101], v[124:125], s[36:37], -v[100:101]
	v_add_f64 v[179:180], v[2:3], v[179:180]
	v_add_f64 v[96:97], v[2:3], v[96:97]
	v_mul_f64 v[189:190], v[154:155], s[18:19]
	v_fma_f64 v[191:192], v[122:123], s[6:7], v[98:99]
	v_mul_f64 v[193:194], v[156:157], s[50:51]
	v_fma_f64 v[195:196], v[152:153], s[36:37], -v[183:184]
	v_add_f64 v[185:186], v[0:1], v[185:186]
	v_fma_f64 v[98:99], v[122:123], s[6:7], -v[98:99]
	v_add_f64 v[179:180], v[187:188], v[179:180]
	v_add_f64 v[96:97], v[100:101], v[96:97]
	v_mul_f64 v[187:188], v[146:147], s[40:41]
	v_fma_f64 v[197:198], v[120:121], s[8:9], v[189:190]
	v_mul_f64 v[199:200], v[150:151], s[18:19]
	v_fma_f64 v[201:202], v[138:139], s[6:7], -v[193:194]
	v_add_f64 v[185:186], v[195:196], v[185:186]
	;; [unrolled: 8-line block ×4, first 2 shown]
	v_fma_f64 v[92:93], v[158:159], s[22:23], v[92:93]
	v_add_f64 v[98:99], v[191:192], v[98:99]
	v_fma_f64 v[179:180], v[116:117], s[14:15], -v[179:180]
	v_add_f64 v[96:97], v[187:188], v[96:97]
	v_mul_f64 v[181:182], v[130:131], s[30:31]
	v_fma_f64 v[189:190], v[114:115], s[4:5], v[100:101]
	v_mul_f64 v[191:192], v[142:143], s[16:17]
	v_fma_f64 v[203:204], v[170:171], s[14:15], -v[201:202]
	v_add_f64 v[185:186], v[205:206], v[185:186]
	v_add_f64 v[98:99], v[197:198], v[98:99]
	v_fma_f64 v[183:184], v[152:153], s[36:37], v[183:184]
	v_add_f64 v[92:93], v[0:1], v[92:93]
	v_fma_f64 v[100:101], v[114:115], s[4:5], -v[100:101]
	v_add_f64 v[96:97], v[179:180], v[96:97]
	v_mul_f64 v[187:188], v[140:141], s[30:31]
	v_fma_f64 v[197:198], v[168:169], s[4:5], -v[191:192]
	v_add_f64 v[185:186], v[203:204], v[185:186]
	v_fma_f64 v[179:180], v[112:113], s[24:25], v[181:182]
	v_add_f64 v[98:99], v[189:190], v[98:99]
	v_fma_f64 v[193:194], v[138:139], s[6:7], v[193:194]
	v_add_f64 v[183:184], v[183:184], v[92:93]
	v_fma_f64 v[181:182], v[112:113], s[24:25], -v[181:182]
	v_add_f64 v[96:97], v[100:101], v[96:97]
	v_fma_f64 v[94:95], v[112:113], s[8:9], -v[94:95]
	v_fma_f64 v[189:190], v[166:167], s[24:25], -v[187:188]
	v_add_f64 v[185:186], v[197:198], v[185:186]
	v_add_f64 v[92:93], v[102:103], v[90:91]
	v_fma_f64 v[100:101], v[132:133], s[8:9], v[199:200]
	v_mul_f64 v[102:103], v[174:175], s[26:27]
	v_add_f64 v[183:184], v[193:194], v[183:184]
	v_add_f64 v[90:91], v[179:180], v[98:99]
	;; [unrolled: 1-line block ×3, first 2 shown]
	v_mul_f64 v[96:97], v[164:165], s[26:27]
	v_add_f64 v[94:95], v[94:95], v[88:89]
	v_add_f64 v[88:89], v[189:190], v[185:186]
	v_fma_f64 v[179:180], v[128:129], s[34:35], v[195:196]
	v_mul_f64 v[181:182], v[172:173], s[40:41]
	v_fma_f64 v[185:186], v[126:127], s[14:15], v[102:103]
	v_add_f64 v[100:101], v[100:101], v[183:184]
	v_mul_f64 v[189:190], v[162:163], s[40:41]
	v_fma_f64 v[193:194], v[158:159], s[14:15], -v[96:97]
	v_fma_f64 v[183:184], v[166:167], s[24:25], v[187:188]
	v_fma_f64 v[187:188], v[170:171], s[14:15], v[201:202]
	v_mul_f64 v[195:196], v[160:161], s[46:47]
	v_fma_f64 v[197:198], v[124:125], s[34:35], v[181:182]
	v_add_f64 v[185:186], v[2:3], v[185:186]
	v_add_f64 v[100:101], v[179:180], v[100:101]
	v_fma_f64 v[179:180], v[168:169], s[4:5], v[191:192]
	v_mul_f64 v[191:192], v[156:157], s[46:47]
	v_fma_f64 v[199:200], v[152:153], s[34:35], -v[189:190]
	v_add_f64 v[193:194], v[0:1], v[193:194]
	v_mul_f64 v[201:202], v[154:155], s[42:43]
	v_fma_f64 v[203:204], v[122:123], s[22:23], v[195:196]
	v_add_f64 v[185:186], v[197:198], v[185:186]
	v_add_f64 v[100:101], v[187:188], v[100:101]
	v_mul_f64 v[187:188], v[150:151], s[42:43]
	v_fma_f64 v[102:103], v[126:127], s[14:15], -v[102:103]
	v_fma_f64 v[197:198], v[138:139], s[22:23], -v[191:192]
	v_add_f64 v[193:194], v[199:200], v[193:194]
	v_mul_f64 v[199:200], v[146:147], s[18:19]
	v_fma_f64 v[205:206], v[120:121], s[4:5], v[201:202]
	v_add_f64 v[185:186], v[203:204], v[185:186]
	v_mul_f64 v[203:204], v[148:149], s[18:19]
	v_fma_f64 v[181:182], v[124:125], s[34:35], -v[181:182]
	v_add_f64 v[102:103], v[2:3], v[102:103]
	v_fma_f64 v[207:208], v[132:133], s[4:5], -v[187:188]
	v_add_f64 v[193:194], v[197:198], v[193:194]
	v_mul_f64 v[197:198], v[136:137], s[38:39]
	v_fma_f64 v[209:210], v[118:119], s[8:9], v[199:200]
	v_add_f64 v[185:186], v[205:206], v[185:186]
	v_mul_f64 v[205:206], v[144:145], s[38:39]
	v_fma_f64 v[195:196], v[122:123], s[22:23], -v[195:196]
	v_add_f64 v[102:103], v[181:182], v[102:103]
	v_fma_f64 v[181:182], v[128:129], s[8:9], -v[203:204]
	v_add_f64 v[193:194], v[207:208], v[193:194]
	v_mul_f64 v[207:208], v[134:135], s[54:55]
	v_fma_f64 v[211:212], v[116:117], s[36:37], v[197:198]
	v_add_f64 v[185:186], v[209:210], v[185:186]
	v_mul_f64 v[209:210], v[142:143], s[54:55]
	v_fma_f64 v[201:202], v[120:121], s[4:5], -v[201:202]
	v_add_f64 v[102:103], v[195:196], v[102:103]
	v_fma_f64 v[195:196], v[170:171], s[36:37], -v[205:206]
	v_add_f64 v[181:182], v[181:182], v[193:194]
	v_mul_f64 v[193:194], v[130:131], s[50:51]
	v_fma_f64 v[213:214], v[114:115], s[24:25], v[207:208]
	v_add_f64 v[185:186], v[211:212], v[185:186]
	v_mul_f64 v[211:212], v[140:141], s[50:51]
	v_fma_f64 v[199:200], v[118:119], s[8:9], -v[199:200]
	v_add_f64 v[102:103], v[201:202], v[102:103]
	v_fma_f64 v[201:202], v[168:169], s[24:25], -v[209:210]
	v_add_f64 v[181:182], v[195:196], v[181:182]
	v_add_f64 v[100:101], v[179:180], v[100:101]
	v_fma_f64 v[195:196], v[158:159], s[14:15], v[96:97]
	v_fma_f64 v[179:180], v[112:113], s[6:7], v[193:194]
	v_add_f64 v[185:186], v[213:214], v[185:186]
	v_fma_f64 v[197:198], v[116:117], s[36:37], -v[197:198]
	v_add_f64 v[102:103], v[199:200], v[102:103]
	v_fma_f64 v[199:200], v[166:167], s[6:7], -v[211:212]
	v_add_f64 v[181:182], v[201:202], v[181:182]
	v_add_f64 v[96:97], v[183:184], v[100:101]
	v_fma_f64 v[183:184], v[152:153], s[34:35], v[189:190]
	v_mul_f64 v[189:190], v[174:175], s[18:19]
	v_add_f64 v[195:196], v[0:1], v[195:196]
	v_fma_f64 v[201:202], v[114:115], s[24:25], -v[207:208]
	v_add_f64 v[197:198], v[197:198], v[102:103]
	v_add_f64 v[102:103], v[179:180], v[185:186]
	;; [unrolled: 1-line block ×3, first 2 shown]
	v_fma_f64 v[179:180], v[138:139], s[22:23], v[191:192]
	v_mul_f64 v[181:182], v[172:173], s[30:31]
	v_fma_f64 v[185:186], v[126:127], s[8:9], v[189:190]
	v_add_f64 v[183:184], v[183:184], v[195:196]
	v_mul_f64 v[195:196], v[164:165], s[18:19]
	v_fma_f64 v[191:192], v[112:113], s[6:7], -v[193:194]
	v_add_f64 v[193:194], v[201:202], v[197:198]
	v_fma_f64 v[187:188], v[132:133], s[4:5], v[187:188]
	v_mul_f64 v[197:198], v[160:161], s[52:53]
	v_fma_f64 v[199:200], v[124:125], s[24:25], v[181:182]
	v_add_f64 v[185:186], v[2:3], v[185:186]
	v_add_f64 v[179:180], v[179:180], v[183:184]
	v_fma_f64 v[201:202], v[128:129], s[8:9], v[203:204]
	v_mul_f64 v[203:204], v[162:163], s[30:31]
	v_fma_f64 v[207:208], v[158:159], s[8:9], -v[195:196]
	v_fma_f64 v[183:184], v[166:167], s[6:7], v[211:212]
	v_mul_f64 v[211:212], v[154:155], s[46:47]
	v_fma_f64 v[213:214], v[122:123], s[34:35], v[197:198]
	v_add_f64 v[185:186], v[199:200], v[185:186]
	v_add_f64 v[179:180], v[187:188], v[179:180]
	v_fma_f64 v[187:188], v[170:171], s[36:37], v[205:206]
	v_mul_f64 v[199:200], v[156:157], s[52:53]
	v_fma_f64 v[205:206], v[152:153], s[24:25], -v[203:204]
	v_add_f64 v[207:208], v[0:1], v[207:208]
	v_fma_f64 v[189:190], v[126:127], s[8:9], -v[189:190]
	v_mul_f64 v[215:216], v[146:147], s[50:51]
	v_fma_f64 v[217:218], v[120:121], s[22:23], v[211:212]
	v_add_f64 v[185:186], v[213:214], v[185:186]
	v_add_f64 v[179:180], v[201:202], v[179:180]
	v_fma_f64 v[201:202], v[168:169], s[24:25], v[209:210]
	v_mul_f64 v[209:210], v[150:151], s[46:47]
	v_fma_f64 v[213:214], v[138:139], s[34:35], -v[199:200]
	v_add_f64 v[205:206], v[205:206], v[207:208]
	v_fma_f64 v[181:182], v[124:125], s[24:25], -v[181:182]
	v_add_f64 v[189:190], v[2:3], v[189:190]
	v_mul_f64 v[207:208], v[136:137], s[16:17]
	v_fma_f64 v[219:220], v[118:119], s[6:7], v[215:216]
	v_add_f64 v[185:186], v[217:218], v[185:186]
	v_add_f64 v[179:180], v[187:188], v[179:180]
	v_mul_f64 v[187:188], v[148:149], s[50:51]
	v_fma_f64 v[217:218], v[132:133], s[22:23], -v[209:210]
	v_add_f64 v[205:206], v[213:214], v[205:206]
	v_fma_f64 v[197:198], v[122:123], s[34:35], -v[197:198]
	v_add_f64 v[181:182], v[181:182], v[189:190]
	v_mul_f64 v[213:214], v[134:135], s[26:27]
	v_fma_f64 v[221:222], v[116:117], s[4:5], v[207:208]
	v_add_f64 v[185:186], v[219:220], v[185:186]
	v_mul_f64 v[219:220], v[144:145], s[16:17]
	v_fma_f64 v[223:224], v[128:129], s[6:7], -v[187:188]
	v_add_f64 v[205:206], v[217:218], v[205:206]
	v_add_f64 v[179:180], v[201:202], v[179:180]
	v_fma_f64 v[211:212], v[120:121], s[22:23], -v[211:212]
	v_add_f64 v[197:198], v[197:198], v[181:182]
	v_mul_f64 v[217:218], v[130:131], s[38:39]
	v_fma_f64 v[225:226], v[114:115], s[14:15], v[213:214]
	v_add_f64 v[185:186], v[221:222], v[185:186]
	v_mul_f64 v[221:222], v[142:143], s[26:27]
	v_fma_f64 v[189:190], v[170:171], s[4:5], -v[219:220]
	v_add_f64 v[205:206], v[223:224], v[205:206]
	v_add_f64 v[181:182], v[191:192], v[193:194]
	;; [unrolled: 1-line block ×3, first 2 shown]
	v_fma_f64 v[183:184], v[118:119], s[6:7], -v[215:216]
	v_mul_f64 v[191:192], v[174:175], s[20:21]
	v_add_f64 v[193:194], v[211:212], v[197:198]
	v_fma_f64 v[201:202], v[112:113], s[36:37], v[217:218]
	v_add_f64 v[185:186], v[225:226], v[185:186]
	v_fma_f64 v[225:226], v[168:169], s[14:15], -v[221:222]
	v_add_f64 v[189:190], v[189:190], v[205:206]
	v_fma_f64 v[195:196], v[158:159], s[8:9], v[195:196]
	v_fma_f64 v[205:206], v[116:117], s[4:5], -v[207:208]
	v_mul_f64 v[207:208], v[172:173], s[26:27]
	v_fma_f64 v[211:212], v[126:127], s[6:7], v[191:192]
	v_add_f64 v[183:184], v[183:184], v[193:194]
	v_fma_f64 v[193:194], v[114:115], s[14:15], -v[213:214]
	v_mul_f64 v[213:214], v[164:165], s[20:21]
	v_add_f64 v[185:186], v[201:202], v[185:186]
	v_add_f64 v[189:190], v[225:226], v[189:190]
	v_fma_f64 v[201:202], v[112:113], s[36:37], -v[217:218]
	v_fma_f64 v[203:204], v[152:153], s[24:25], v[203:204]
	v_add_f64 v[195:196], v[0:1], v[195:196]
	v_mul_f64 v[215:216], v[160:161], s[30:31]
	v_fma_f64 v[217:218], v[124:125], s[14:15], v[207:208]
	v_add_f64 v[211:212], v[2:3], v[211:212]
	v_add_f64 v[183:184], v[205:206], v[183:184]
	v_mul_f64 v[205:206], v[162:163], s[26:27]
	v_fma_f64 v[225:226], v[158:159], s[6:7], -v[213:214]
	v_fma_f64 v[199:200], v[138:139], s[34:35], v[199:200]
	v_add_f64 v[195:196], v[203:204], v[195:196]
	v_mul_f64 v[203:204], v[154:155], s[40:41]
	v_fma_f64 v[227:228], v[122:123], s[24:25], v[215:216]
	v_add_f64 v[211:212], v[217:218], v[211:212]
	v_mul_f64 v[217:218], v[156:157], s[30:31]
	v_fma_f64 v[229:230], v[152:153], s[14:15], -v[205:206]
	v_add_f64 v[225:226], v[0:1], v[225:226]
	v_mul_f64 v[223:224], v[140:141], s[38:39]
	v_add_f64 v[195:196], v[199:200], v[195:196]
	v_mul_f64 v[199:200], v[146:147], s[48:49]
	v_fma_f64 v[231:232], v[120:121], s[34:35], v[203:204]
	v_add_f64 v[211:212], v[227:228], v[211:212]
	v_mul_f64 v[227:228], v[150:151], s[40:41]
	v_fma_f64 v[233:234], v[138:139], s[24:25], -v[217:218]
	v_add_f64 v[225:226], v[229:230], v[225:226]
	v_fma_f64 v[197:198], v[166:167], s[36:37], -v[223:224]
	v_fma_f64 v[209:210], v[132:133], s[22:23], v[209:210]
	v_fma_f64 v[229:230], v[118:119], s[36:37], v[199:200]
	v_add_f64 v[193:194], v[193:194], v[183:184]
	v_add_f64 v[211:212], v[231:232], v[211:212]
	v_mul_f64 v[231:232], v[148:149], s[48:49]
	v_fma_f64 v[235:236], v[132:133], s[34:35], -v[227:228]
	v_add_f64 v[225:226], v[233:234], v[225:226]
	v_fma_f64 v[191:192], v[126:127], s[6:7], -v[191:192]
	v_add_f64 v[6:7], v[2:3], v[6:7]
	v_add_f64 v[4:5], v[0:1], v[4:5]
	v_add_f64 v[195:196], v[209:210], v[195:196]
	v_add_f64 v[211:212], v[229:230], v[211:212]
	v_mul_f64 v[229:230], v[144:145], s[46:47]
	v_fma_f64 v[237:238], v[128:129], s[36:37], -v[231:232]
	v_add_f64 v[225:226], v[235:236], v[225:226]
	v_mul_f64 v[209:210], v[136:137], s[46:47]
	v_add_f64 v[191:192], v[2:3], v[191:192]
	v_fma_f64 v[213:214], v[158:159], s[6:7], v[213:214]
	v_mul_f64 v[174:175], v[174:175], s[16:17]
	v_add_f64 v[6:7], v[6:7], v[10:11]
	v_fma_f64 v[183:184], v[170:171], s[22:23], -v[229:230]
	v_add_f64 v[4:5], v[4:5], v[8:9]
	v_add_f64 v[225:226], v[237:238], v[225:226]
	v_fma_f64 v[233:234], v[116:117], s[22:23], v[209:210]
	v_fma_f64 v[215:216], v[122:123], s[24:25], -v[215:216]
	v_fma_f64 v[205:206], v[152:153], s[14:15], v[205:206]
	v_mul_f64 v[172:173], v[172:173], s[20:21]
	v_add_f64 v[6:7], v[6:7], v[14:15]
	v_mul_f64 v[160:161], v[160:161], s[18:19]
	v_add_f64 v[4:5], v[4:5], v[12:13]
	v_add_f64 v[225:226], v[183:184], v[225:226]
	;; [unrolled: 1-line block ×3, first 2 shown]
	v_fma_f64 v[197:198], v[124:125], s[14:15], -v[207:208]
	v_mul_f64 v[10:11], v[154:155], s[26:27]
	v_fma_f64 v[203:204], v[120:121], s[34:35], -v[203:204]
	v_add_f64 v[6:7], v[6:7], v[18:19]
	v_fma_f64 v[154:155], v[122:123], s[8:9], v[160:161]
	v_add_f64 v[4:5], v[4:5], v[16:17]
	v_mul_f64 v[12:13], v[146:147], s[28:29]
	v_fma_f64 v[187:188], v[128:129], s[6:7], v[187:188]
	v_add_f64 v[191:192], v[197:198], v[191:192]
	v_fma_f64 v[197:198], v[116:117], s[22:23], -v[209:210]
	v_add_f64 v[209:210], v[0:1], v[213:214]
	v_fma_f64 v[213:214], v[126:127], s[4:5], v[174:175]
	v_add_f64 v[6:7], v[6:7], v[22:23]
	v_add_f64 v[20:21], v[4:5], v[20:21]
	v_fma_f64 v[14:15], v[120:121], s[14:15], v[10:11]
	v_fma_f64 v[199:200], v[118:119], s[36:37], -v[199:200]
	v_add_f64 v[191:192], v[215:216], v[191:192]
	v_fma_f64 v[215:216], v[138:139], s[24:25], v[217:218]
	v_add_f64 v[205:206], v[205:206], v[209:210]
	v_fma_f64 v[209:210], v[124:125], s[6:7], v[172:173]
	v_add_f64 v[213:214], v[2:3], v[213:214]
	v_add_f64 v[6:7], v[6:7], v[42:43]
	;; [unrolled: 1-line block ×3, first 2 shown]
	v_mul_f64 v[16:17], v[136:137], s[30:31]
	v_add_f64 v[191:192], v[203:204], v[191:192]
	v_fma_f64 v[203:204], v[132:133], s[34:35], v[227:228]
	v_add_f64 v[8:9], v[215:216], v[205:206]
	v_fma_f64 v[18:19], v[118:119], s[22:23], v[12:13]
	v_add_f64 v[205:206], v[209:210], v[213:214]
	v_add_f64 v[6:7], v[6:7], v[62:63]
	;; [unrolled: 1-line block ×3, first 2 shown]
	v_fma_f64 v[219:220], v[170:171], s[4:5], v[219:220]
	v_add_f64 v[187:188], v[187:188], v[195:196]
	v_mul_f64 v[195:196], v[134:135], s[44:45]
	v_add_f64 v[191:192], v[199:200], v[191:192]
	v_fma_f64 v[199:200], v[128:129], s[36:37], v[231:232]
	v_add_f64 v[146:147], v[154:155], v[205:206]
	v_add_f64 v[8:9], v[203:204], v[8:9]
	v_mul_f64 v[22:23], v[134:135], s[38:39]
	v_fma_f64 v[134:135], v[116:117], s[24:25], v[16:17]
	v_mul_f64 v[60:61], v[164:165], s[16:17]
	v_add_f64 v[6:7], v[6:7], v[66:67]
	v_add_f64 v[20:21], v[20:21], v[64:65]
	v_fma_f64 v[221:222], v[168:169], s[14:15], v[221:222]
	v_add_f64 v[14:15], v[14:15], v[146:147]
	v_add_f64 v[187:188], v[219:220], v[187:188]
	v_mul_f64 v[219:220], v[130:131], s[42:43]
	v_fma_f64 v[235:236], v[114:115], s[8:9], v[195:196]
	v_add_f64 v[211:212], v[233:234], v[211:212]
	v_mul_f64 v[233:234], v[142:143], s[44:45]
	v_add_f64 v[154:155], v[197:198], v[191:192]
	v_fma_f64 v[191:192], v[170:171], s[22:23], v[229:230]
	v_add_f64 v[14:15], v[18:19], v[14:15]
	v_add_f64 v[8:9], v[199:200], v[8:9]
	v_fma_f64 v[126:127], v[126:127], s[4:5], -v[174:175]
	v_fma_f64 v[64:65], v[158:159], s[4:5], v[60:61]
	v_fma_f64 v[60:61], v[158:159], s[4:5], -v[60:61]
	v_add_f64 v[6:7], v[6:7], v[58:59]
	v_add_f64 v[20:21], v[20:21], v[56:57]
	;; [unrolled: 1-line block ×4, first 2 shown]
	v_mul_f64 v[134:135], v[142:143], s[38:39]
	v_mul_f64 v[142:143], v[162:163], s[20:21]
	v_fma_f64 v[221:222], v[112:113], s[4:5], v[219:220]
	v_add_f64 v[211:212], v[235:236], v[211:212]
	v_fma_f64 v[195:196], v[114:115], s[8:9], -v[195:196]
	v_fma_f64 v[146:147], v[168:169], s[8:9], v[233:234]
	v_add_f64 v[8:9], v[191:192], v[8:9]
	v_mul_f64 v[66:67], v[156:157], s[18:19]
	v_fma_f64 v[124:125], v[124:125], s[6:7], -v[172:173]
	v_add_f64 v[2:3], v[2:3], v[126:127]
	v_fma_f64 v[126:127], v[152:153], s[6:7], v[142:143]
	v_add_f64 v[56:57], v[0:1], v[64:65]
	v_fma_f64 v[58:59], v[152:153], s[6:7], -v[142:143]
	v_add_f64 v[0:1], v[0:1], v[60:61]
	v_add_f64 v[6:7], v[6:7], v[46:47]
	;; [unrolled: 1-line block ×3, first 2 shown]
	v_mul_f64 v[235:236], v[140:141], s[42:43]
	v_add_f64 v[189:190], v[201:202], v[193:194]
	v_add_f64 v[193:194], v[221:222], v[211:212]
	v_fma_f64 v[211:212], v[112:113], s[4:5], -v[219:220]
	v_add_f64 v[136:137], v[195:196], v[154:155]
	v_add_f64 v[40:41], v[146:147], v[8:9]
	v_mul_f64 v[8:9], v[130:131], s[40:41]
	v_mul_f64 v[130:131], v[140:141], s[40:41]
	;; [unrolled: 1-line block ×3, first 2 shown]
	v_fma_f64 v[60:61], v[122:123], s[8:9], -v[160:161]
	v_add_f64 v[2:3], v[124:125], v[2:3]
	v_fma_f64 v[64:65], v[138:139], s[8:9], v[66:67]
	v_add_f64 v[44:45], v[126:127], v[56:57]
	v_fma_f64 v[46:47], v[138:139], s[8:9], -v[66:67]
	v_add_f64 v[0:1], v[58:59], v[0:1]
	v_add_f64 v[6:7], v[6:7], v[50:51]
	;; [unrolled: 1-line block ×4, first 2 shown]
	v_mul_f64 v[136:137], v[148:149], s[28:29]
	v_fma_f64 v[10:11], v[120:121], s[14:15], -v[10:11]
	v_add_f64 v[2:3], v[60:61], v[2:3]
	v_fma_f64 v[56:57], v[132:133], s[14:15], v[140:141]
	v_add_f64 v[44:45], v[64:65], v[44:45]
	v_fma_f64 v[48:49], v[132:133], s[14:15], -v[140:141]
	v_add_f64 v[0:1], v[46:47], v[0:1]
	v_add_f64 v[6:7], v[6:7], v[54:55]
	;; [unrolled: 1-line block ×3, first 2 shown]
	v_mul_f64 v[62:63], v[144:145], s[30:31]
	v_fma_f64 v[12:13], v[118:119], s[22:23], -v[12:13]
	v_add_f64 v[2:3], v[10:11], v[2:3]
	v_fma_f64 v[10:11], v[128:129], s[22:23], v[136:137]
	v_add_f64 v[44:45], v[56:57], v[44:45]
	v_fma_f64 v[46:47], v[128:129], s[22:23], -v[136:137]
	v_add_f64 v[0:1], v[48:49], v[0:1]
	v_add_f64 v[6:7], v[6:7], v[30:31]
	;; [unrolled: 1-line block ×3, first 2 shown]
	v_fma_f64 v[16:17], v[116:117], s[24:25], -v[16:17]
	v_add_f64 v[2:3], v[12:13], v[2:3]
	v_fma_f64 v[12:13], v[170:171], s[24:25], v[62:63]
	v_add_f64 v[10:11], v[10:11], v[44:45]
	v_fma_f64 v[28:29], v[170:171], s[24:25], -v[62:63]
	v_add_f64 v[0:1], v[46:47], v[0:1]
	v_add_f64 v[6:7], v[6:7], v[34:35]
	;; [unrolled: 1-line block ×3, first 2 shown]
	v_fma_f64 v[42:43], v[114:115], s[36:37], v[22:23]
	v_fma_f64 v[22:23], v[114:115], s[36:37], -v[22:23]
	v_add_f64 v[2:3], v[16:17], v[2:3]
	v_fma_f64 v[16:17], v[168:169], s[36:37], v[134:135]
	v_add_f64 v[10:11], v[12:13], v[10:11]
	v_fma_f64 v[12:13], v[168:169], s[36:37], -v[134:135]
	v_add_f64 v[0:1], v[28:29], v[0:1]
	v_fma_f64 v[237:238], v[168:169], s[8:9], -v[233:234]
	v_add_f64 v[6:7], v[6:7], v[38:39]
	v_add_f64 v[20:21], v[20:21], v[36:37]
	v_fma_f64 v[28:29], v[112:113], s[34:35], -v[8:9]
	v_add_f64 v[2:3], v[22:23], v[2:3]
	v_fma_f64 v[22:23], v[166:167], s[34:35], v[130:131]
	v_add_f64 v[16:17], v[16:17], v[10:11]
	v_fma_f64 v[18:19], v[166:167], s[4:5], v[235:236]
	v_fma_f64 v[223:224], v[166:167], s[36:37], v[223:224]
	v_fma_f64 v[30:31], v[112:113], s[34:35], v[8:9]
	v_add_f64 v[14:15], v[42:43], v[14:15]
	v_fma_f64 v[32:33], v[166:167], s[34:35], -v[130:131]
	v_add_f64 v[0:1], v[12:13], v[0:1]
	v_fma_f64 v[201:202], v[166:167], s[4:5], -v[235:236]
	v_add_f64 v[207:208], v[237:238], v[225:226]
	v_add_f64 v[12:13], v[6:7], v[26:27]
	;; [unrolled: 1-line block ×9, first 2 shown]
	v_mul_i32_i24_e32 v0, 0x110, v108
	v_add3_u32 v0, 0, v0, v178
	v_add_f64 v[191:192], v[201:202], v[207:208]
	ds_write_b128 v0, v[10:13]
	ds_write_b128 v0, v[6:9] offset:16
	ds_write_b128 v0, v[2:5] offset:32
	;; [unrolled: 1-line block ×16, first 2 shown]
.LBB0_14:
	s_or_b64 exec, exec, s[56:57]
	v_lshlrev_b32_e32 v0, 1, v106
	v_mov_b32_e32 v1, 0
	v_lshlrev_b64 v[4:5], 4, v[0:1]
	v_mov_b32_e32 v3, s13
	v_add_co_u32_e64 v4, s[0:1], s12, v4
	v_addc_co_u32_e64 v5, s[0:1], v3, v5, s[0:1]
	s_waitcnt lgkmcnt(0)
	; wave barrier
	s_waitcnt lgkmcnt(0)
	global_load_dwordx4 v[9:12], v[4:5], off
	global_load_dwordx4 v[13:16], v[4:5], off offset:16
	v_add_u16_e32 v0, 34, v106
	s_movk_i32 s0, 0xf1
	v_mul_lo_u16_sdwa v2, v0, s0 dst_sel:DWORD dst_unused:UNUSED_PAD src0_sel:BYTE_0 src1_sel:DWORD
	v_lshrrev_b16_e32 v2, 12, v2
	v_mul_lo_u16_e32 v2, 17, v2
	v_sub_u16_e32 v0, v0, v2
	v_mov_b32_e32 v2, 5
	v_lshlrev_b32_sdwa v4, v2, v0 dst_sel:DWORD dst_unused:UNUSED_PAD src0_sel:DWORD src1_sel:BYTE_0
	global_load_dwordx4 v[17:20], v4, s[12:13]
	global_load_dwordx4 v[21:24], v4, s[12:13] offset:16
	v_add_u16_e32 v4, 51, v106
	v_mul_lo_u16_sdwa v5, v4, s0 dst_sel:DWORD dst_unused:UNUSED_PAD src0_sel:BYTE_0 src1_sel:DWORD
	v_lshrrev_b16_e32 v5, 12, v5
	v_mul_lo_u16_e32 v5, 17, v5
	v_sub_u16_e32 v4, v4, v5
	v_lshlrev_b32_sdwa v5, v2, v4 dst_sel:DWORD dst_unused:UNUSED_PAD src0_sel:DWORD src1_sel:BYTE_0
	global_load_dwordx4 v[25:28], v5, s[12:13] offset:16
	global_load_dwordx4 v[29:32], v5, s[12:13]
	v_add_u16_e32 v5, 0x44, v106
	v_mul_lo_u16_sdwa v6, v5, s0 dst_sel:DWORD dst_unused:UNUSED_PAD src0_sel:BYTE_0 src1_sel:DWORD
	v_lshrrev_b16_e32 v6, 12, v6
	v_mul_lo_u16_e32 v6, 17, v6
	v_sub_u16_e32 v5, v5, v6
	v_lshlrev_b32_sdwa v6, v2, v5 dst_sel:DWORD dst_unused:UNUSED_PAD src0_sel:DWORD src1_sel:BYTE_0
	global_load_dwordx4 v[33:36], v6, s[12:13]
	global_load_dwordx4 v[37:40], v6, s[12:13] offset:16
	v_add_u16_e32 v6, 0x55, v106
	v_mul_lo_u16_sdwa v7, v6, s0 dst_sel:DWORD dst_unused:UNUSED_PAD src0_sel:BYTE_0 src1_sel:DWORD
	v_lshrrev_b16_e32 v7, 12, v7
	v_mul_lo_u16_e32 v7, 17, v7
	v_sub_u16_e32 v6, v6, v7
	v_lshlrev_b32_sdwa v7, v2, v6 dst_sel:DWORD dst_unused:UNUSED_PAD src0_sel:DWORD src1_sel:BYTE_0
	global_load_dwordx4 v[41:44], v7, s[12:13] offset:16
	global_load_dwordx4 v[45:48], v7, s[12:13]
	v_add_u16_e32 v7, 0x66, v106
	v_mul_lo_u16_sdwa v8, v7, s0 dst_sel:DWORD dst_unused:UNUSED_PAD src0_sel:BYTE_0 src1_sel:DWORD
	v_lshrrev_b16_e32 v8, 12, v8
	v_mul_lo_u16_e32 v8, 17, v8
	v_sub_u16_e32 v7, v7, v8
	v_lshlrev_b32_sdwa v8, v2, v7 dst_sel:DWORD dst_unused:UNUSED_PAD src0_sel:DWORD src1_sel:BYTE_0
	global_load_dwordx4 v[49:52], v8, s[12:13]
	global_load_dwordx4 v[53:56], v8, s[12:13] offset:16
	v_add_u16_e32 v8, 0x77, v106
	v_mul_lo_u16_sdwa v61, v8, s0 dst_sel:DWORD dst_unused:UNUSED_PAD src0_sel:BYTE_0 src1_sel:DWORD
	v_lshrrev_b16_e32 v61, 12, v61
	v_mul_lo_u16_e32 v61, 17, v61
	v_sub_u16_e32 v8, v8, v61
	v_lshlrev_b32_sdwa v2, v2, v8 dst_sel:DWORD dst_unused:UNUSED_PAD src0_sel:DWORD src1_sel:BYTE_0
	ds_read_b128 v[57:60], v109 offset:2176
	global_load_dwordx4 v[61:64], v2, s[12:13] offset:16
	global_load_dwordx4 v[65:68], v2, s[12:13]
	ds_read_b128 v[69:72], v177
	ds_read_b128 v[73:76], v109 offset:544
	ds_read_b128 v[77:80], v109 offset:2448
	;; [unrolled: 1-line block ×20, first 2 shown]
	v_lshlrev_b32_e32 v2, 4, v108
	v_add3_u32 v2, 0, v2, v178
	ds_read_b128 v[164:167], v2
	ds_read_b128 v[168:171], v109 offset:6256
	s_mov_b32 s0, 0xe8584caa
	s_mov_b32 s1, 0xbfebb67a
	;; [unrolled: 1-line block ×4, first 2 shown]
	s_waitcnt lgkmcnt(0)
	; wave barrier
	s_waitcnt lgkmcnt(0)
	s_add_u32 s6, s12, 0x1870
	s_addc_u32 s7, s13, 0
	s_waitcnt vmcnt(13)
	v_mul_f64 v[101:102], v[59:60], v[11:12]
	v_mul_f64 v[172:173], v[57:58], v[11:12]
	s_waitcnt vmcnt(12)
	v_mul_f64 v[174:175], v[158:159], v[15:16]
	v_mul_f64 v[179:180], v[156:157], v[15:16]
	v_fma_f64 v[57:58], v[57:58], v[9:10], v[101:102]
	v_mul_f64 v[101:102], v[79:80], v[11:12]
	v_mul_f64 v[11:12], v[77:78], v[11:12]
	v_fma_f64 v[59:60], v[59:60], v[9:10], -v[172:173]
	v_mul_f64 v[172:173], v[87:88], v[15:16]
	v_mul_f64 v[15:16], v[85:86], v[15:16]
	v_fma_f64 v[156:157], v[156:157], v[13:14], v[174:175]
	s_waitcnt vmcnt(11)
	v_mul_f64 v[174:175], v[83:84], v[19:20]
	v_fma_f64 v[158:159], v[158:159], v[13:14], -v[179:180]
	v_fma_f64 v[77:78], v[77:78], v[9:10], v[101:102]
	v_fma_f64 v[79:80], v[79:80], v[9:10], -v[11:12]
	s_waitcnt vmcnt(10)
	v_mul_f64 v[9:10], v[91:92], v[23:24]
	v_mul_f64 v[11:12], v[89:90], v[23:24]
	;; [unrolled: 1-line block ×3, first 2 shown]
	v_fma_f64 v[85:86], v[85:86], v[13:14], v[172:173]
	v_fma_f64 v[87:88], v[87:88], v[13:14], -v[15:16]
	s_waitcnt vmcnt(8)
	v_mul_f64 v[13:14], v[114:115], v[31:32]
	v_mul_f64 v[15:16], v[112:113], v[31:32]
	v_fma_f64 v[81:82], v[81:82], v[17:18], v[174:175]
	v_fma_f64 v[89:90], v[89:90], v[21:22], v[9:10]
	v_mul_f64 v[9:10], v[122:123], v[27:28]
	v_fma_f64 v[91:92], v[91:92], v[21:22], -v[11:12]
	s_waitcnt vmcnt(7)
	v_mul_f64 v[11:12], v[116:117], v[35:36]
	v_fma_f64 v[83:84], v[83:84], v[17:18], -v[19:20]
	v_mul_f64 v[17:18], v[120:121], v[27:28]
	v_mul_f64 v[19:20], v[118:119], v[35:36]
	v_fma_f64 v[101:102], v[112:113], v[29:30], v[13:14]
	v_fma_f64 v[112:113], v[114:115], v[29:30], -v[15:16]
	s_waitcnt vmcnt(6)
	v_mul_f64 v[13:14], v[126:127], v[39:40]
	v_fma_f64 v[114:115], v[120:121], v[25:26], v[9:10]
	v_mul_f64 v[9:10], v[124:125], v[39:40]
	v_fma_f64 v[118:119], v[118:119], v[33:34], -v[11:12]
	s_waitcnt vmcnt(4)
	v_mul_f64 v[11:12], v[138:139], v[47:48]
	v_fma_f64 v[120:121], v[122:123], v[25:26], -v[17:18]
	v_mul_f64 v[15:16], v[136:137], v[47:48]
	v_mul_f64 v[17:18], v[144:145], v[43:44]
	v_fma_f64 v[122:123], v[124:125], v[37:38], v[13:14]
	v_mul_f64 v[13:14], v[146:147], v[43:44]
	v_fma_f64 v[124:125], v[126:127], v[37:38], -v[9:10]
	s_waitcnt vmcnt(3)
	v_mul_f64 v[9:10], v[140:141], v[51:52]
	v_fma_f64 v[126:127], v[136:137], v[45:46], v[11:12]
	s_waitcnt vmcnt(2)
	v_mul_f64 v[11:12], v[150:151], v[55:56]
	v_fma_f64 v[116:117], v[116:117], v[33:34], v[19:20]
	v_mul_f64 v[19:20], v[142:143], v[51:52]
	v_fma_f64 v[136:137], v[138:139], v[45:46], -v[15:16]
	v_fma_f64 v[138:139], v[144:145], v[41:42], v[13:14]
	v_fma_f64 v[144:145], v[146:147], v[41:42], -v[17:18]
	v_mul_f64 v[13:14], v[148:149], v[55:56]
	v_fma_f64 v[142:143], v[142:143], v[49:50], -v[9:10]
	s_waitcnt vmcnt(0)
	v_mul_f64 v[9:10], v[162:163], v[67:68]
	v_fma_f64 v[146:147], v[148:149], v[53:54], v[11:12]
	v_mul_f64 v[11:12], v[160:161], v[67:68]
	v_fma_f64 v[140:141], v[140:141], v[49:50], v[19:20]
	v_add_f64 v[15:16], v[57:58], v[156:157]
	v_mul_f64 v[17:18], v[170:171], v[63:64]
	v_mul_f64 v[19:20], v[168:169], v[63:64]
	v_fma_f64 v[148:149], v[150:151], v[53:54], -v[13:14]
	v_fma_f64 v[150:151], v[160:161], v[65:66], v[9:10]
	v_add_f64 v[33:34], v[81:82], v[89:90]
	v_fma_f64 v[160:161], v[162:163], v[65:66], -v[11:12]
	v_add_f64 v[11:12], v[59:60], v[158:159]
	v_add_f64 v[39:40], v[73:74], v[81:82]
	;; [unrolled: 1-line block ×3, first 2 shown]
	v_fma_f64 v[15:16], v[15:16], -0.5, v[69:70]
	v_add_f64 v[21:22], v[59:60], -v[158:159]
	v_fma_f64 v[162:163], v[168:169], v[61:62], v[17:18]
	v_fma_f64 v[168:169], v[170:171], v[61:62], -v[19:20]
	v_add_f64 v[19:20], v[71:72], v[59:60]
	v_add_f64 v[23:24], v[77:78], v[85:86]
	v_fma_f64 v[25:26], v[11:12], -0.5, v[71:72]
	v_add_f64 v[27:28], v[57:58], -v[156:157]
	v_add_f64 v[29:30], v[79:80], v[87:88]
	v_add_f64 v[41:42], v[83:84], v[91:92]
	v_fma_f64 v[43:44], v[33:34], -0.5, v[73:74]
	v_add_f64 v[33:34], v[39:40], v[89:90]
	v_add_f64 v[39:40], v[101:102], v[114:115]
	;; [unrolled: 1-line block ×5, first 2 shown]
	v_fma_f64 v[13:14], v[21:22], s[0:1], v[15:16]
	v_fma_f64 v[17:18], v[21:22], s[4:5], v[15:16]
	v_add_f64 v[11:12], v[19:20], v[158:159]
	v_fma_f64 v[23:24], v[23:24], -0.5, v[164:165]
	v_add_f64 v[31:32], v[79:80], -v[87:88]
	v_fma_f64 v[15:16], v[27:28], s[4:5], v[25:26]
	v_fma_f64 v[19:20], v[27:28], s[0:1], v[25:26]
	v_add_f64 v[27:28], v[166:167], v[79:80]
	v_fma_f64 v[35:36], v[29:30], -0.5, v[166:167]
	v_add_f64 v[37:38], v[77:78], -v[85:86]
	v_add_f64 v[45:46], v[83:84], -v[91:92]
	v_fma_f64 v[47:48], v[41:42], -0.5, v[75:76]
	v_add_f64 v[49:50], v[81:82], -v[89:90]
	v_fma_f64 v[53:54], v[39:40], -0.5, v[93:94]
	;; [unrolled: 2-line block ×3, first 2 shown]
	v_add_f64 v[61:62], v[101:102], -v[114:115]
	v_add_f64 v[63:64], v[97:98], v[116:117]
	v_add_f64 v[65:66], v[118:119], v[124:125]
	v_fma_f64 v[67:68], v[57:58], -0.5, v[97:98]
	v_add_f64 v[69:70], v[118:119], -v[124:125]
	v_add_f64 v[21:22], v[164:165], v[77:78]
	v_fma_f64 v[25:26], v[31:32], s[0:1], v[23:24]
	v_fma_f64 v[29:30], v[31:32], s[4:5], v[23:24]
	v_add_f64 v[23:24], v[27:28], v[87:88]
	v_fma_f64 v[27:28], v[37:38], s[4:5], v[35:36]
	v_fma_f64 v[31:32], v[37:38], s[0:1], v[35:36]
	;; [unrolled: 3-line block ×3, first 2 shown]
	v_fma_f64 v[39:40], v[49:50], s[4:5], v[47:48]
	v_fma_f64 v[43:44], v[49:50], s[0:1], v[47:48]
	;; [unrolled: 1-line block ×5, first 2 shown]
	v_add_f64 v[71:72], v[99:100], v[118:119]
	v_fma_f64 v[55:56], v[61:62], s[0:1], v[59:60]
	v_add_f64 v[57:58], v[63:64], v[122:123]
	v_add_f64 v[63:64], v[126:127], v[138:139]
	v_fma_f64 v[73:74], v[65:66], -0.5, v[99:100]
	v_add_f64 v[75:76], v[116:117], -v[122:123]
	v_fma_f64 v[61:62], v[69:70], s[0:1], v[67:68]
	v_fma_f64 v[65:66], v[69:70], s[4:5], v[67:68]
	v_add_f64 v[69:70], v[136:137], v[144:145]
	v_add_f64 v[81:82], v[140:141], v[146:147]
	;; [unrolled: 1-line block ×5, first 2 shown]
	v_fma_f64 v[77:78], v[63:64], -0.5, v[128:129]
	v_add_f64 v[79:80], v[136:137], -v[144:145]
	v_fma_f64 v[63:64], v[75:76], s[4:5], v[73:74]
	v_fma_f64 v[67:68], v[75:76], s[0:1], v[73:74]
	v_add_f64 v[75:76], v[130:131], v[136:137]
	v_fma_f64 v[83:84], v[69:70], -0.5, v[130:131]
	v_add_f64 v[85:86], v[126:127], -v[138:139]
	v_add_f64 v[87:88], v[132:133], v[140:141]
	v_add_f64 v[35:36], v[35:36], v[91:92]
	v_fma_f64 v[89:90], v[81:82], -0.5, v[132:133]
	v_add_f64 v[91:92], v[142:143], -v[148:149]
	v_add_f64 v[45:46], v[93:94], v[101:102]
	v_add_f64 v[93:94], v[142:143], v[148:149]
	;; [unrolled: 1-line block ×4, first 2 shown]
	v_fma_f64 v[73:74], v[79:80], s[0:1], v[77:78]
	v_fma_f64 v[77:78], v[79:80], s[4:5], v[77:78]
	v_add_f64 v[71:72], v[75:76], v[144:145]
	v_fma_f64 v[75:76], v[85:86], s[4:5], v[83:84]
	v_fma_f64 v[79:80], v[85:86], s[0:1], v[83:84]
	v_add_f64 v[81:82], v[87:88], v[146:147]
	v_add_f64 v[83:84], v[150:151], v[162:163]
	;; [unrolled: 1-line block ×3, first 2 shown]
	v_fma_f64 v[85:86], v[91:92], s[0:1], v[89:90]
	v_fma_f64 v[89:90], v[91:92], s[4:5], v[89:90]
	v_add_f64 v[91:92], v[134:135], v[142:143]
	v_fma_f64 v[93:94], v[93:94], -0.5, v[134:135]
	v_add_f64 v[95:96], v[140:141], -v[146:147]
	v_add_f64 v[45:46], v[45:46], v[114:115]
	v_add_f64 v[47:48], v[47:48], v[120:121]
	;; [unrolled: 1-line block ×4, first 2 shown]
	v_fma_f64 v[99:100], v[83:84], -0.5, v[152:153]
	v_add_f64 v[101:102], v[160:161], -v[168:169]
	v_fma_f64 v[116:117], v[87:88], -0.5, v[154:155]
	v_add_f64 v[118:119], v[150:151], -v[162:163]
	ds_write_b128 v109, v[9:12]
	ds_write_b128 v109, v[13:16] offset:272
	ds_write_b128 v109, v[17:20] offset:544
	;; [unrolled: 1-line block ×5, first 2 shown]
	v_mov_b32_e32 v9, 4
	v_lshlrev_b32_sdwa v0, v9, v0 dst_sel:DWORD dst_unused:UNUSED_PAD src0_sel:DWORD src1_sel:BYTE_0
	v_add3_u32 v0, 0, v0, v178
	v_add_f64 v[83:84], v[91:92], v[148:149]
	ds_write_b128 v0, v[33:36] offset:1632
	ds_write_b128 v0, v[37:40] offset:1904
	;; [unrolled: 1-line block ×3, first 2 shown]
	v_lshlrev_b32_sdwa v0, v9, v4 dst_sel:DWORD dst_unused:UNUSED_PAD src0_sel:DWORD src1_sel:BYTE_0
	v_fma_f64 v[87:88], v[95:96], s[4:5], v[93:94]
	v_add3_u32 v0, 0, v0, v178
	v_fma_f64 v[91:92], v[95:96], s[0:1], v[93:94]
	v_add_f64 v[93:94], v[97:98], v[162:163]
	v_add_f64 v[95:96], v[114:115], v[168:169]
	ds_write_b128 v0, v[45:48] offset:2448
	ds_write_b128 v0, v[49:52] offset:2720
	;; [unrolled: 1-line block ×3, first 2 shown]
	v_lshlrev_b32_sdwa v0, v9, v5 dst_sel:DWORD dst_unused:UNUSED_PAD src0_sel:DWORD src1_sel:BYTE_0
	v_fma_f64 v[97:98], v[101:102], s[0:1], v[99:100]
	v_fma_f64 v[112:113], v[101:102], s[4:5], v[99:100]
	;; [unrolled: 1-line block ×3, first 2 shown]
	v_add3_u32 v0, 0, v0, v178
	v_fma_f64 v[114:115], v[118:119], s[0:1], v[116:117]
	ds_write_b128 v0, v[57:60] offset:3264
	ds_write_b128 v0, v[61:64] offset:3536
	ds_write_b128 v0, v[65:68] offset:3808
	v_lshlrev_b32_sdwa v0, v9, v6 dst_sel:DWORD dst_unused:UNUSED_PAD src0_sel:DWORD src1_sel:BYTE_0
	v_add3_u32 v0, 0, v0, v178
	ds_write_b128 v0, v[69:72] offset:4080
	ds_write_b128 v0, v[73:76] offset:4352
	ds_write_b128 v0, v[77:80] offset:4624
	v_lshlrev_b32_sdwa v0, v9, v7 dst_sel:DWORD dst_unused:UNUSED_PAD src0_sel:DWORD src1_sel:BYTE_0
	v_add3_u32 v0, 0, v0, v178
	;; [unrolled: 5-line block ×3, first 2 shown]
	ds_write_b128 v0, v[93:96] offset:5712
	ds_write_b128 v0, v[97:100] offset:5984
	;; [unrolled: 1-line block ×3, first 2 shown]
	v_mul_u32_u24_e32 v0, 7, v106
	v_lshlrev_b32_e32 v48, 4, v0
	s_waitcnt lgkmcnt(0)
	; wave barrier
	s_waitcnt lgkmcnt(0)
	global_load_dwordx4 v[4:7], v48, s[12:13] offset:544
	global_load_dwordx4 v[8:11], v48, s[12:13] offset:560
	;; [unrolled: 1-line block ×7, first 2 shown]
	v_mul_i32_i24_e32 v0, 7, v108
	v_lshlrev_b64 v[32:33], 4, v[0:1]
	s_mov_b32 s5, 0x3fe6a09e
	v_add_co_u32_e64 v60, s[0:1], s12, v32
	v_addc_co_u32_e64 v61, s[0:1], v3, v33, s[0:1]
	global_load_dwordx4 v[32:35], v[60:61], off offset:544
	global_load_dwordx4 v[36:39], v[60:61], off offset:560
	;; [unrolled: 1-line block ×4, first 2 shown]
	v_add_co_u32_e64 v0, s[0:1], s12, v48
	global_load_dwordx4 v[48:51], v[60:61], off offset:640
	global_load_dwordx4 v[52:55], v[60:61], off offset:624
	;; [unrolled: 1-line block ×3, first 2 shown]
	v_addc_co_u32_e64 v3, s[0:1], 0, v3, s[0:1]
	s_movk_i32 s0, 0xee0
	v_add_co_u32_e64 v190, s[0:1], s0, v0
	v_addc_co_u32_e64 v191, s[0:1], 0, v3, s[0:1]
	global_load_dwordx4 v[60:63], v[190:191], off offset:560
	global_load_dwordx4 v[64:67], v[190:191], off offset:544
	ds_read_b128 v[68:71], v109 offset:816
	ds_read_b128 v[72:75], v109 offset:1088
	;; [unrolled: 1-line block ×8, first 2 shown]
	ds_read_b128 v[100:103], v177
	ds_read_b128 v[112:115], v109 offset:544
	global_load_dwordx4 v[116:119], v[190:191], off offset:592
	global_load_dwordx4 v[120:123], v[190:191], off offset:576
	ds_read_b128 v[124:127], v109 offset:1632
	ds_read_b128 v[128:131], v109 offset:1360
	global_load_dwordx4 v[132:135], v[190:191], off offset:624
	global_load_dwordx4 v[136:139], v[190:191], off offset:608
	ds_read_b128 v[140:143], v109 offset:1904
	ds_read_b128 v[144:147], v109 offset:2176
	;; [unrolled: 1-line block ×10, first 2 shown]
	ds_read_b128 v[182:185], v2
	ds_read_b128 v[186:189], v109 offset:6256
	s_mov_b32 s0, 0x667f3bcd
	s_mov_b32 s1, 0xbfe6a09e
	;; [unrolled: 1-line block ×3, first 2 shown]
	s_waitcnt vmcnt(19) lgkmcnt(14)
	v_mul_f64 v[192:193], v[70:71], v[6:7]
	v_mul_f64 v[6:7], v[68:69], v[6:7]
	s_waitcnt vmcnt(18) lgkmcnt(13)
	v_mul_f64 v[194:195], v[126:127], v[10:11]
	v_mul_f64 v[10:11], v[124:125], v[10:11]
	s_waitcnt vmcnt(17)
	v_mul_f64 v[196:197], v[78:79], v[14:15]
	v_mul_f64 v[14:15], v[76:77], v[14:15]
	v_fma_f64 v[68:69], v[68:69], v[4:5], v[192:193]
	v_fma_f64 v[70:71], v[70:71], v[4:5], -v[6:7]
	s_waitcnt vmcnt(16) lgkmcnt(9)
	v_mul_f64 v[3:4], v[150:151], v[18:19]
	v_mul_f64 v[5:6], v[148:149], v[18:19]
	v_fma_f64 v[124:125], v[124:125], v[8:9], v[194:195]
	v_fma_f64 v[7:8], v[126:127], v[8:9], -v[10:11]
	v_fma_f64 v[9:10], v[76:77], v[12:13], v[196:197]
	v_fma_f64 v[11:12], v[78:79], v[12:13], -v[14:15]
	s_waitcnt vmcnt(15)
	v_mul_f64 v[13:14], v[86:87], v[22:23]
	v_mul_f64 v[18:19], v[84:85], v[22:23]
	v_fma_f64 v[78:79], v[148:149], v[16:17], v[3:4]
	v_fma_f64 v[15:16], v[150:151], v[16:17], -v[5:6]
	global_load_dwordx4 v[3:6], v[190:191], off offset:640
	s_waitcnt vmcnt(15) lgkmcnt(5)
	v_mul_f64 v[22:23], v[166:167], v[26:27]
	v_mul_f64 v[26:27], v[164:165], v[26:27]
	s_waitcnt vmcnt(14)
	v_mul_f64 v[76:77], v[94:95], v[30:31]
	v_mul_f64 v[30:31], v[92:93], v[30:31]
	v_fma_f64 v[13:14], v[84:85], v[20:21], v[13:14]
	v_fma_f64 v[17:18], v[86:87], v[20:21], -v[18:19]
	s_waitcnt vmcnt(10)
	v_mul_f64 v[84:85], v[158:159], v[46:47]
	v_mul_f64 v[46:47], v[156:157], v[46:47]
	v_fma_f64 v[19:20], v[164:165], v[24:25], v[22:23]
	v_fma_f64 v[21:22], v[166:167], v[24:25], -v[26:27]
	v_fma_f64 v[23:24], v[92:93], v[28:29], v[76:77]
	v_fma_f64 v[25:26], v[94:95], v[28:29], -v[30:31]
	v_mul_f64 v[27:28], v[74:75], v[34:35]
	v_mul_f64 v[29:30], v[72:73], v[34:35]
	;; [unrolled: 1-line block ×6, first 2 shown]
	v_add_f64 v[78:79], v[100:101], -v[78:79]
	v_add_f64 v[15:16], v[102:103], -v[15:16]
	v_fma_f64 v[27:28], v[72:73], v[32:33], v[27:28]
	v_fma_f64 v[29:30], v[74:75], v[32:33], -v[29:30]
	v_fma_f64 v[31:32], v[140:141], v[36:37], v[34:35]
	v_fma_f64 v[33:34], v[142:143], v[36:37], -v[38:39]
	;; [unrolled: 2-line block ×4, first 2 shown]
	s_waitcnt vmcnt(7)
	v_mul_f64 v[43:44], v[90:91], v[58:59]
	v_mul_f64 v[45:46], v[88:89], v[58:59]
	s_waitcnt lgkmcnt(3)
	v_mul_f64 v[58:59], v[174:175], v[54:55]
	v_mul_f64 v[54:55], v[172:173], v[54:55]
	;; [unrolled: 1-line block ×4, first 2 shown]
	v_add_f64 v[19:20], v[124:125], -v[19:20]
	v_add_f64 v[21:22], v[7:8], -v[21:22]
	;; [unrolled: 1-line block ×6, first 2 shown]
	v_fma_f64 v[43:44], v[88:89], v[56:57], v[43:44]
	v_fma_f64 v[45:46], v[90:91], v[56:57], -v[45:46]
	v_fma_f64 v[56:57], v[172:173], v[52:53], v[58:59]
	v_fma_f64 v[52:53], v[174:175], v[52:53], -v[54:55]
	;; [unrolled: 2-line block ×3, first 2 shown]
	v_fma_f64 v[88:89], v[100:101], 2.0, -v[78:79]
	v_fma_f64 v[68:69], v[68:69], 2.0, -v[13:14]
	v_fma_f64 v[70:71], v[70:71], 2.0, -v[17:18]
	v_fma_f64 v[9:10], v[9:10], 2.0, -v[23:24]
	v_fma_f64 v[11:12], v[11:12], 2.0, -v[25:26]
	v_add_f64 v[94:95], v[78:79], v[21:22]
	v_add_f64 v[96:97], v[15:16], -v[19:20]
	v_add_f64 v[98:99], v[13:14], v[25:26]
	v_add_f64 v[100:101], v[17:18], -v[23:24]
	s_waitcnt vmcnt(6)
	v_mul_f64 v[49:50], v[146:147], v[62:63]
	v_fma_f64 v[90:91], v[102:103], 2.0, -v[15:16]
	v_fma_f64 v[92:93], v[124:125], 2.0, -v[19:20]
	;; [unrolled: 1-line block ×3, first 2 shown]
	v_add_f64 v[23:24], v[68:69], -v[9:10]
	v_add_f64 v[21:22], v[70:71], -v[11:12]
	v_fma_f64 v[19:20], v[78:79], 2.0, -v[94:95]
	v_fma_f64 v[78:79], v[15:16], 2.0, -v[96:97]
	;; [unrolled: 1-line block ×4, first 2 shown]
	s_waitcnt vmcnt(5)
	v_mul_f64 v[74:75], v[130:131], v[66:67]
	v_mul_f64 v[58:59], v[144:145], v[62:63]
	v_fma_f64 v[84:85], v[144:145], v[60:61], v[49:50]
	s_waitcnt vmcnt(2) lgkmcnt(2)
	v_mul_f64 v[49:50], v[180:181], v[134:135]
	v_add_f64 v[25:26], v[88:89], -v[92:93]
	v_add_f64 v[92:93], v[90:91], -v[7:8]
	v_fma_f64 v[7:8], v[68:69], 2.0, -v[23:24]
	v_fma_f64 v[17:18], v[70:71], 2.0, -v[21:22]
	v_fma_f64 v[68:69], v[11:12], s[0:1], v[19:20]
	v_fma_f64 v[70:71], v[9:10], s[0:1], v[78:79]
	v_mul_f64 v[66:67], v[128:129], v[66:67]
	v_fma_f64 v[72:73], v[128:129], v[64:65], v[74:75]
	v_mul_f64 v[74:75], v[162:163], v[118:119]
	v_mul_f64 v[76:77], v[160:161], v[118:119]
	v_fma_f64 v[86:87], v[146:147], v[60:61], -v[58:59]
	v_mul_f64 v[58:59], v[178:179], v[134:135]
	v_fma_f64 v[13:14], v[88:89], 2.0, -v[25:26]
	v_fma_f64 v[15:16], v[90:91], 2.0, -v[92:93]
	s_waitcnt vmcnt(0) lgkmcnt(0)
	v_mul_f64 v[88:89], v[188:189], v[5:6]
	v_mul_f64 v[90:91], v[186:187], v[5:6]
	v_fma_f64 v[9:10], v[9:10], s[4:5], v[68:69]
	v_fma_f64 v[11:12], v[11:12], s[0:1], v[70:71]
	;; [unrolled: 1-line block ×3, first 2 shown]
	v_add_f64 v[39:40], v[182:183], -v[39:40]
	v_add_f64 v[41:42], v[184:185], -v[41:42]
	;; [unrolled: 1-line block ×8, first 2 shown]
	v_fma_f64 v[64:65], v[130:131], v[64:65], -v[66:67]
	v_mul_f64 v[62:63], v[154:155], v[122:123]
	v_mul_f64 v[66:67], v[152:153], v[122:123]
	;; [unrolled: 1-line block ×4, first 2 shown]
	v_fma_f64 v[74:75], v[160:161], v[116:117], v[74:75]
	v_fma_f64 v[76:77], v[162:163], v[116:117], -v[76:77]
	v_add_f64 v[5:6], v[13:14], -v[7:8]
	v_add_f64 v[7:8], v[15:16], -v[17:18]
	v_fma_f64 v[70:71], v[180:181], v[132:133], -v[58:59]
	v_fma_f64 v[88:89], v[186:187], v[3:4], v[88:89]
	v_fma_f64 v[3:4], v[188:189], v[3:4], -v[90:91]
	v_fma_f64 v[17:18], v[19:20], 2.0, -v[9:10]
	v_fma_f64 v[19:20], v[78:79], 2.0, -v[11:12]
	v_fma_f64 v[56:57], v[182:183], 2.0, -v[39:40]
	v_fma_f64 v[58:59], v[184:185], 2.0, -v[41:42]
	v_fma_f64 v[31:32], v[31:32], 2.0, -v[49:50]
	v_fma_f64 v[33:34], v[33:34], 2.0, -v[51:52]
	v_fma_f64 v[27:28], v[27:28], 2.0, -v[43:44]
	v_fma_f64 v[29:30], v[29:30], 2.0, -v[45:46]
	v_add_f64 v[78:79], v[39:40], v[51:52]
	v_add_f64 v[90:91], v[41:42], -v[49:50]
	v_fma_f64 v[35:36], v[35:36], 2.0, -v[53:54]
	v_fma_f64 v[37:38], v[37:38], 2.0, -v[47:48]
	v_add_f64 v[102:103], v[43:44], v[47:48]
	v_add_f64 v[116:117], v[45:46], -v[53:54]
	v_fma_f64 v[61:62], v[152:153], v[120:121], v[62:63]
	v_fma_f64 v[66:67], v[154:155], v[120:121], -v[66:67]
	v_fma_f64 v[80:81], v[168:169], v[136:137], v[80:81]
	v_fma_f64 v[82:83], v[170:171], v[136:137], -v[82:83]
	v_add_f64 v[118:119], v[56:57], -v[31:32]
	v_add_f64 v[120:121], v[58:59], -v[33:34]
	v_fma_f64 v[53:54], v[39:40], 2.0, -v[78:79]
	v_fma_f64 v[122:123], v[41:42], 2.0, -v[90:91]
	v_add_f64 v[47:48], v[27:28], -v[35:36]
	v_add_f64 v[41:42], v[29:30], -v[37:38]
	v_fma_f64 v[39:40], v[43:44], 2.0, -v[102:103]
	v_fma_f64 v[37:38], v[45:46], 2.0, -v[116:117]
	v_fma_f64 v[31:32], v[98:99], s[4:5], v[94:95]
	v_fma_f64 v[33:34], v[100:101], s[4:5], v[96:97]
	v_fma_f64 v[49:50], v[56:57], 2.0, -v[118:119]
	v_fma_f64 v[51:52], v[58:59], 2.0, -v[120:121]
	;; [unrolled: 1-line block ×4, first 2 shown]
	v_fma_f64 v[45:46], v[39:40], s[0:1], v[53:54]
	v_fma_f64 v[55:56], v[37:38], s[0:1], v[122:123]
	;; [unrolled: 1-line block ×4, first 2 shown]
	v_add_f64 v[74:75], v[112:113], -v[74:75]
	v_add_f64 v[76:77], v[114:115], -v[76:77]
	;; [unrolled: 1-line block ×11, first 2 shown]
	v_fma_f64 v[37:38], v[37:38], s[4:5], v[45:46]
	v_fma_f64 v[39:40], v[39:40], s[0:1], v[55:56]
	v_add_f64 v[41:42], v[118:119], v[41:42]
	v_add_f64 v[43:44], v[120:121], -v[47:48]
	v_fma_f64 v[45:46], v[94:95], 2.0, -v[29:30]
	v_fma_f64 v[47:48], v[96:97], 2.0, -v[31:32]
	v_fma_f64 v[94:95], v[116:117], s[4:5], v[90:91]
	v_fma_f64 v[96:97], v[112:113], 2.0, -v[74:75]
	v_fma_f64 v[98:99], v[114:115], 2.0, -v[76:77]
	;; [unrolled: 1-line block ×6, first 2 shown]
	v_add_f64 v[112:113], v[74:75], v[70:71]
	v_add_f64 v[114:115], v[76:77], -v[68:69]
	v_fma_f64 v[61:62], v[61:62], 2.0, -v[88:89]
	v_fma_f64 v[63:64], v[66:67], 2.0, -v[3:4]
	v_add_f64 v[3:4], v[80:81], v[3:4]
	v_add_f64 v[88:89], v[82:83], -v[88:89]
	v_fma_f64 v[27:28], v[92:93], 2.0, -v[23:24]
	v_fma_f64 v[55:56], v[122:123], 2.0, -v[39:40]
	;; [unrolled: 1-line block ×4, first 2 shown]
	v_fma_f64 v[92:93], v[102:103], s[4:5], v[78:79]
	v_add_f64 v[118:119], v[96:97], -v[84:85]
	v_add_f64 v[120:121], v[98:99], -v[86:87]
	v_fma_f64 v[122:123], v[74:75], 2.0, -v[112:113]
	v_fma_f64 v[124:125], v[76:77], 2.0, -v[114:115]
	v_add_f64 v[84:85], v[72:73], -v[61:62]
	v_add_f64 v[86:87], v[100:101], -v[63:64]
	v_fma_f64 v[75:76], v[80:81], 2.0, -v[3:4]
	v_fma_f64 v[80:81], v[82:83], 2.0, -v[88:89]
	v_fma_f64 v[63:64], v[102:103], s[0:1], v[94:95]
	v_fma_f64 v[61:62], v[116:117], s[4:5], v[92:93]
	v_fma_f64 v[92:93], v[96:97], 2.0, -v[118:119]
	v_fma_f64 v[94:95], v[98:99], 2.0, -v[120:121]
	;; [unrolled: 1-line block ×4, first 2 shown]
	v_fma_f64 v[73:74], v[75:76], s[0:1], v[122:123]
	v_fma_f64 v[82:83], v[80:81], s[0:1], v[124:125]
	v_fma_f64 v[67:68], v[90:91], 2.0, -v[63:64]
	v_fma_f64 v[90:91], v[3:4], s[4:5], v[112:113]
	v_fma_f64 v[96:97], v[88:89], s[4:5], v[114:115]
	v_add_f64 v[21:22], v[25:26], v[21:22]
	v_fma_f64 v[13:14], v[13:14], 2.0, -v[5:6]
	v_fma_f64 v[15:16], v[15:16], 2.0, -v[7:8]
	;; [unrolled: 1-line block ×3, first 2 shown]
	v_add_f64 v[69:70], v[92:93], -v[69:70]
	v_add_f64 v[71:72], v[94:95], -v[71:72]
	v_fma_f64 v[73:74], v[80:81], s[4:5], v[73:74]
	v_fma_f64 v[75:76], v[75:76], s[0:1], v[82:83]
	v_add_f64 v[77:78], v[118:119], v[86:87]
	v_add_f64 v[79:80], v[120:121], -v[84:85]
	v_fma_f64 v[81:82], v[88:89], s[4:5], v[90:91]
	v_fma_f64 v[83:84], v[3:4], s[0:1], v[96:97]
	v_fma_f64 v[25:26], v[25:26], 2.0, -v[21:22]
	v_fma_f64 v[49:50], v[49:50], 2.0, -v[33:34]
	;; [unrolled: 1-line block ×12, first 2 shown]
	s_waitcnt lgkmcnt(0)
	; wave barrier
	ds_write_b128 v109, v[13:16]
	ds_write_b128 v109, v[17:20] offset:816
	ds_write_b128 v109, v[25:28] offset:1632
	;; [unrolled: 1-line block ×7, first 2 shown]
	ds_write_b128 v2, v[49:52]
	ds_write_b128 v2, v[53:56] offset:816
	ds_write_b128 v2, v[57:60] offset:1632
	ds_write_b128 v2, v[65:68] offset:2448
	ds_write_b128 v2, v[33:36] offset:3264
	ds_write_b128 v2, v[37:40] offset:4080
	ds_write_b128 v2, v[41:44] offset:4896
	ds_write_b128 v2, v[61:64] offset:5712
	ds_write_b128 v109, v[85:88] offset:544
	ds_write_b128 v109, v[89:92] offset:1360
	ds_write_b128 v109, v[93:96] offset:2176
	ds_write_b128 v109, v[97:100] offset:2992
	ds_write_b128 v109, v[69:72] offset:3808
	ds_write_b128 v109, v[73:76] offset:4624
	ds_write_b128 v109, v[77:80] offset:5440
	ds_write_b128 v109, v[81:84] offset:6256
	s_waitcnt lgkmcnt(0)
	; wave barrier
	s_waitcnt lgkmcnt(0)
	ds_read_b128 v[4:7], v177
	v_sub_u32_e32 v12, v176, v107
	v_cmp_ne_u32_e64 s[0:1], 0, v106
                                        ; implicit-def: $vgpr2_vgpr3
                                        ; implicit-def: $vgpr8_vgpr9
                                        ; implicit-def: $vgpr10_vgpr11
	s_and_saveexec_b64 s[4:5], s[0:1]
	s_xor_b64 s[4:5], exec, s[4:5]
	s_cbranch_execz .LBB0_16
; %bb.15:
	v_mov_b32_e32 v107, v1
	v_lshlrev_b64 v[0:1], 4, v[106:107]
	v_mov_b32_e32 v2, s7
	v_add_co_u32_e64 v0, s[0:1], s6, v0
	v_addc_co_u32_e64 v1, s[0:1], v2, v1, s[0:1]
	global_load_dwordx4 v[0:3], v[0:1], off
	ds_read_b128 v[8:11], v12 offset:6528
	s_waitcnt lgkmcnt(0)
	v_add_f64 v[13:14], v[4:5], -v[8:9]
	v_add_f64 v[15:16], v[6:7], v[10:11]
	v_add_f64 v[6:7], v[6:7], -v[10:11]
	v_add_f64 v[4:5], v[4:5], v[8:9]
	v_mul_f64 v[10:11], v[13:14], 0.5
	v_mul_f64 v[13:14], v[15:16], 0.5
	;; [unrolled: 1-line block ×3, first 2 shown]
	s_waitcnt vmcnt(0)
	v_mul_f64 v[8:9], v[10:11], v[2:3]
	v_fma_f64 v[15:16], v[13:14], v[2:3], v[6:7]
	v_fma_f64 v[2:3], v[13:14], v[2:3], -v[6:7]
	v_fma_f64 v[17:18], v[4:5], 0.5, v[8:9]
	v_fma_f64 v[4:5], v[4:5], 0.5, -v[8:9]
	v_fma_f64 v[8:9], -v[0:1], v[10:11], v[15:16]
	v_fma_f64 v[2:3], -v[0:1], v[10:11], v[2:3]
	v_mov_b32_e32 v10, v106
	v_mov_b32_e32 v11, v107
	v_fma_f64 v[6:7], v[13:14], v[0:1], v[17:18]
	v_fma_f64 v[0:1], -v[13:14], v[0:1], v[4:5]
                                        ; implicit-def: $vgpr4_vgpr5
	ds_write_b64 v177, v[6:7]
.LBB0_16:
	s_andn2_saveexec_b64 s[0:1], s[4:5]
	s_cbranch_execz .LBB0_18
; %bb.17:
	s_waitcnt lgkmcnt(0)
	v_add_f64 v[2:3], v[4:5], v[6:7]
	ds_read_b64 v[13:14], v176 offset:3272
	v_add_f64 v[0:1], v[4:5], -v[6:7]
	v_mov_b32_e32 v8, 0
	v_mov_b32_e32 v10, 0
	;; [unrolled: 1-line block ×3, first 2 shown]
	s_waitcnt lgkmcnt(0)
	v_xor_b32_e32 v14, 0x80000000, v14
	ds_write_b64 v176, v[13:14] offset:3272
	ds_write_b64 v177, v[2:3]
	v_mov_b32_e32 v2, v8
	v_mov_b32_e32 v11, 0
	;; [unrolled: 1-line block ×3, first 2 shown]
.LBB0_18:
	s_or_b64 exec, exec, s[0:1]
	v_mov_b32_e32 v109, 0
	s_waitcnt lgkmcnt(0)
	v_lshlrev_b64 v[4:5], 4, v[108:109]
	v_mov_b32_e32 v6, s7
	v_add_co_u32_e64 v4, s[0:1], s6, v4
	v_addc_co_u32_e64 v5, s[0:1], v6, v5, s[0:1]
	global_load_dwordx4 v[13:16], v[4:5], off
	v_lshlrev_b64 v[4:5], 4, v[10:11]
	v_lshl_add_u32 v27, v108, 4, v176
	v_add_co_u32_e64 v4, s[0:1], s6, v4
	v_addc_co_u32_e64 v5, s[0:1], v6, v5, s[0:1]
	global_load_dwordx4 v[17:20], v[4:5], off offset:544
	ds_write_b64 v177, v[8:9] offset:8
	ds_write_b128 v12, v[0:3] offset:6528
	ds_read_b128 v[0:3], v27
	ds_read_b128 v[6:9], v12 offset:6256
	s_waitcnt lgkmcnt(0)
	v_add_f64 v[10:11], v[0:1], -v[6:7]
	v_add_f64 v[21:22], v[2:3], v[8:9]
	v_add_f64 v[2:3], v[2:3], -v[8:9]
	v_add_f64 v[0:1], v[0:1], v[6:7]
	v_mul_f64 v[10:11], v[10:11], 0.5
	v_mul_f64 v[21:22], v[21:22], 0.5
	;; [unrolled: 1-line block ×3, first 2 shown]
	s_waitcnt vmcnt(1)
	v_mul_f64 v[6:7], v[10:11], v[15:16]
	v_fma_f64 v[8:9], v[21:22], v[15:16], v[2:3]
	v_fma_f64 v[15:16], v[21:22], v[15:16], -v[2:3]
	v_fma_f64 v[23:24], v[0:1], 0.5, v[6:7]
	v_fma_f64 v[25:26], v[0:1], 0.5, -v[6:7]
	global_load_dwordx4 v[0:3], v[4:5], off offset:816
	v_fma_f64 v[8:9], -v[13:14], v[10:11], v[8:9]
	v_fma_f64 v[15:16], -v[13:14], v[10:11], v[15:16]
	v_fma_f64 v[6:7], v[21:22], v[13:14], v[23:24]
	v_fma_f64 v[13:14], -v[21:22], v[13:14], v[25:26]
	ds_write_b128 v27, v[6:9]
	ds_write_b128 v12, v[13:16] offset:6256
	ds_read_b128 v[6:9], v177 offset:544
	ds_read_b128 v[13:16], v12 offset:5984
	s_waitcnt lgkmcnt(0)
	v_add_f64 v[10:11], v[6:7], -v[13:14]
	v_add_f64 v[21:22], v[8:9], v[15:16]
	v_add_f64 v[8:9], v[8:9], -v[15:16]
	v_add_f64 v[6:7], v[6:7], v[13:14]
	v_mul_f64 v[10:11], v[10:11], 0.5
	v_mul_f64 v[21:22], v[21:22], 0.5
	v_mul_f64 v[8:9], v[8:9], 0.5
	s_waitcnt vmcnt(1)
	v_mul_f64 v[13:14], v[10:11], v[19:20]
	v_fma_f64 v[15:16], v[21:22], v[19:20], v[8:9]
	v_fma_f64 v[19:20], v[21:22], v[19:20], -v[8:9]
	v_fma_f64 v[23:24], v[6:7], 0.5, v[13:14]
	v_fma_f64 v[25:26], v[6:7], 0.5, -v[13:14]
	global_load_dwordx4 v[6:9], v[4:5], off offset:1088
	v_fma_f64 v[15:16], -v[17:18], v[10:11], v[15:16]
	v_fma_f64 v[19:20], -v[17:18], v[10:11], v[19:20]
	v_fma_f64 v[13:14], v[21:22], v[17:18], v[23:24]
	v_fma_f64 v[17:18], -v[21:22], v[17:18], v[25:26]
	ds_write_b128 v177, v[13:16] offset:544
	ds_write_b128 v12, v[17:20] offset:5984
	ds_read_b128 v[13:16], v177 offset:816
	ds_read_b128 v[17:20], v12 offset:5712
	s_waitcnt lgkmcnt(0)
	v_add_f64 v[10:11], v[13:14], -v[17:18]
	v_add_f64 v[21:22], v[15:16], v[19:20]
	v_add_f64 v[15:16], v[15:16], -v[19:20]
	v_add_f64 v[13:14], v[13:14], v[17:18]
	v_mul_f64 v[10:11], v[10:11], 0.5
	v_mul_f64 v[21:22], v[21:22], 0.5
	v_mul_f64 v[15:16], v[15:16], 0.5
	s_waitcnt vmcnt(1)
	v_mul_f64 v[17:18], v[10:11], v[2:3]
	v_fma_f64 v[19:20], v[21:22], v[2:3], v[15:16]
	v_fma_f64 v[2:3], v[21:22], v[2:3], -v[15:16]
	v_fma_f64 v[23:24], v[13:14], 0.5, v[17:18]
	v_fma_f64 v[25:26], v[13:14], 0.5, -v[17:18]
	global_load_dwordx4 v[13:16], v[4:5], off offset:1360
	v_fma_f64 v[19:20], -v[0:1], v[10:11], v[19:20]
	v_fma_f64 v[2:3], -v[0:1], v[10:11], v[2:3]
	v_fma_f64 v[17:18], v[21:22], v[0:1], v[23:24]
	v_fma_f64 v[0:1], -v[21:22], v[0:1], v[25:26]
	ds_write_b128 v177, v[17:20] offset:816
	;; [unrolled: 23-line block ×6, first 2 shown]
	ds_write_b128 v12, v[17:20] offset:4624
	ds_read_b128 v[6:9], v177 offset:2176
	ds_read_b128 v[17:20], v12 offset:4352
	s_waitcnt lgkmcnt(0)
	v_add_f64 v[10:11], v[6:7], -v[17:18]
	v_add_f64 v[21:22], v[8:9], v[19:20]
	v_add_f64 v[8:9], v[8:9], -v[19:20]
	v_add_f64 v[6:7], v[6:7], v[17:18]
	v_mul_f64 v[10:11], v[10:11], 0.5
	v_mul_f64 v[19:20], v[21:22], 0.5
	;; [unrolled: 1-line block ×3, first 2 shown]
	s_waitcnt vmcnt(1)
	v_mul_f64 v[17:18], v[10:11], v[15:16]
	v_fma_f64 v[21:22], v[19:20], v[15:16], v[8:9]
	v_fma_f64 v[15:16], v[19:20], v[15:16], -v[8:9]
	v_fma_f64 v[23:24], v[6:7], 0.5, v[17:18]
	v_fma_f64 v[25:26], v[6:7], 0.5, -v[17:18]
	global_load_dwordx4 v[6:9], v[4:5], off offset:2720
	v_fma_f64 v[17:18], -v[13:14], v[10:11], v[21:22]
	v_fma_f64 v[21:22], -v[13:14], v[10:11], v[15:16]
	v_xor_b32_e32 v10, 0xff, v106
	v_lshl_add_u32 v27, v10, 4, v176
	v_fma_f64 v[15:16], v[19:20], v[13:14], v[23:24]
	v_fma_f64 v[19:20], -v[19:20], v[13:14], v[25:26]
	ds_write_b128 v177, v[15:18] offset:2176
	ds_write_b128 v12, v[19:22] offset:4352
	ds_read_b128 v[13:16], v177 offset:2448
	ds_read_b128 v[17:20], v27
	s_waitcnt lgkmcnt(0)
	v_add_f64 v[10:11], v[13:14], -v[17:18]
	v_add_f64 v[21:22], v[15:16], v[19:20]
	v_add_f64 v[15:16], v[15:16], -v[19:20]
	v_add_f64 v[13:14], v[13:14], v[17:18]
	v_mul_f64 v[10:11], v[10:11], 0.5
	v_mul_f64 v[21:22], v[21:22], 0.5
	;; [unrolled: 1-line block ×3, first 2 shown]
	s_waitcnt vmcnt(1)
	v_mul_f64 v[17:18], v[10:11], v[2:3]
	v_fma_f64 v[19:20], v[21:22], v[2:3], v[15:16]
	v_fma_f64 v[23:24], v[21:22], v[2:3], -v[15:16]
	global_load_dwordx4 v[2:5], v[4:5], off offset:2992
	v_fma_f64 v[25:26], v[13:14], 0.5, v[17:18]
	v_fma_f64 v[17:18], v[13:14], 0.5, -v[17:18]
	v_fma_f64 v[15:16], -v[0:1], v[10:11], v[19:20]
	v_fma_f64 v[19:20], -v[0:1], v[10:11], v[23:24]
	v_fma_f64 v[13:14], v[21:22], v[0:1], v[25:26]
	v_fma_f64 v[17:18], -v[21:22], v[0:1], v[17:18]
	ds_write_b128 v177, v[13:16] offset:2448
	ds_write_b128 v27, v[17:20]
	ds_read_b128 v[13:16], v177 offset:2720
	ds_read_b128 v[17:20], v12 offset:3808
	s_waitcnt lgkmcnt(0)
	v_add_f64 v[0:1], v[13:14], -v[17:18]
	v_add_f64 v[10:11], v[15:16], v[19:20]
	v_add_f64 v[15:16], v[15:16], -v[19:20]
	v_add_f64 v[13:14], v[13:14], v[17:18]
	v_mul_f64 v[0:1], v[0:1], 0.5
	v_mul_f64 v[19:20], v[10:11], 0.5
	;; [unrolled: 1-line block ×3, first 2 shown]
	s_waitcnt vmcnt(1)
	v_mul_f64 v[15:16], v[0:1], v[8:9]
	v_fma_f64 v[17:18], v[19:20], v[8:9], v[10:11]
	v_fma_f64 v[8:9], v[19:20], v[8:9], -v[10:11]
	v_fma_f64 v[21:22], v[13:14], 0.5, v[15:16]
	v_fma_f64 v[13:14], v[13:14], 0.5, -v[15:16]
	v_fma_f64 v[10:11], -v[6:7], v[0:1], v[17:18]
	v_fma_f64 v[15:16], -v[6:7], v[0:1], v[8:9]
	v_fma_f64 v[8:9], v[19:20], v[6:7], v[21:22]
	v_fma_f64 v[13:14], -v[19:20], v[6:7], v[13:14]
	ds_write_b128 v177, v[8:11] offset:2720
	ds_write_b128 v12, v[13:16] offset:3808
	ds_read_b128 v[6:9], v177 offset:2992
	ds_read_b128 v[13:16], v12 offset:3536
	s_waitcnt lgkmcnt(0)
	v_add_f64 v[0:1], v[6:7], -v[13:14]
	v_add_f64 v[10:11], v[8:9], v[15:16]
	v_add_f64 v[8:9], v[8:9], -v[15:16]
	v_add_f64 v[6:7], v[6:7], v[13:14]
	v_mul_f64 v[0:1], v[0:1], 0.5
	v_mul_f64 v[15:16], v[10:11], 0.5
	;; [unrolled: 1-line block ×3, first 2 shown]
	s_waitcnt vmcnt(0)
	v_mul_f64 v[10:11], v[0:1], v[4:5]
	v_fma_f64 v[13:14], v[15:16], v[4:5], v[8:9]
	v_fma_f64 v[4:5], v[15:16], v[4:5], -v[8:9]
	v_fma_f64 v[8:9], v[6:7], 0.5, v[10:11]
	v_fma_f64 v[17:18], v[6:7], 0.5, -v[10:11]
	v_fma_f64 v[6:7], -v[2:3], v[0:1], v[13:14]
	v_fma_f64 v[10:11], -v[2:3], v[0:1], v[4:5]
	v_fma_f64 v[4:5], v[15:16], v[2:3], v[8:9]
	v_fma_f64 v[8:9], -v[15:16], v[2:3], v[17:18]
	ds_write_b128 v177, v[4:7] offset:2992
	ds_write_b128 v12, v[8:11] offset:3536
	s_waitcnt lgkmcnt(0)
	; wave barrier
	s_waitcnt lgkmcnt(0)
	s_and_saveexec_b64 s[0:1], vcc
	s_cbranch_execz .LBB0_21
; %bb.19:
	v_mul_lo_u32 v0, s3, v110
	v_mul_lo_u32 v3, s2, v111
	v_mad_u64_u32 v[1:2], s[0:1], s2, v110, 0
	v_mov_b32_e32 v7, s11
	v_mov_b32_e32 v107, v109
	v_add3_u32 v2, v2, v3, v0
	v_lshlrev_b64 v[1:2], 4, v[1:2]
	v_lshl_add_u32 v0, v106, 4, v176
	v_add_co_u32_e32 v1, vcc, s10, v1
	v_addc_co_u32_e32 v9, vcc, v7, v2, vcc
	v_lshlrev_b64 v[7:8], 4, v[104:105]
	ds_read_b128 v[3:6], v0
	v_add_co_u32_e32 v2, vcc, v1, v7
	v_addc_co_u32_e32 v1, vcc, v9, v8, vcc
	v_lshlrev_b64 v[7:8], 4, v[106:107]
	v_add_u32_e32 v108, 17, v106
	v_add_co_u32_e32 v11, vcc, v2, v7
	v_addc_co_u32_e32 v12, vcc, v1, v8, vcc
	ds_read_b128 v[7:10], v0 offset:272
	s_waitcnt lgkmcnt(1)
	global_store_dwordx4 v[11:12], v[3:6], off
	s_nop 0
	v_lshlrev_b64 v[3:4], 4, v[108:109]
	v_add_u32_e32 v108, 34, v106
	v_add_co_u32_e32 v3, vcc, v2, v3
	v_addc_co_u32_e32 v4, vcc, v1, v4, vcc
	s_waitcnt lgkmcnt(0)
	global_store_dwordx4 v[3:4], v[7:10], off
	ds_read_b128 v[3:6], v0 offset:544
	v_lshlrev_b64 v[7:8], 4, v[108:109]
	v_add_u32_e32 v108, 51, v106
	v_add_co_u32_e32 v11, vcc, v2, v7
	v_addc_co_u32_e32 v12, vcc, v1, v8, vcc
	ds_read_b128 v[7:10], v0 offset:816
	s_waitcnt lgkmcnt(1)
	global_store_dwordx4 v[11:12], v[3:6], off
	s_nop 0
	v_lshlrev_b64 v[3:4], 4, v[108:109]
	v_add_u32_e32 v108, 0x44, v106
	v_add_co_u32_e32 v3, vcc, v2, v3
	v_addc_co_u32_e32 v4, vcc, v1, v4, vcc
	s_waitcnt lgkmcnt(0)
	global_store_dwordx4 v[3:4], v[7:10], off
	ds_read_b128 v[3:6], v0 offset:1088
	;; [unrolled: 15-line block ×11, first 2 shown]
	v_lshlrev_b64 v[7:8], 4, v[108:109]
	v_add_u32_e32 v108, 0x187, v106
	v_add_co_u32_e32 v11, vcc, v2, v7
	v_addc_co_u32_e32 v12, vcc, v1, v8, vcc
	ds_read_b128 v[7:10], v0 offset:6256
	s_waitcnt lgkmcnt(1)
	global_store_dwordx4 v[11:12], v[3:6], off
	s_nop 0
	v_lshlrev_b64 v[3:4], 4, v[108:109]
	v_add_co_u32_e32 v3, vcc, v2, v3
	v_addc_co_u32_e32 v4, vcc, v1, v4, vcc
	v_cmp_eq_u32_e32 vcc, 16, v106
	s_waitcnt lgkmcnt(0)
	global_store_dwordx4 v[3:4], v[7:10], off
	s_and_b64 exec, exec, vcc
	s_cbranch_execz .LBB0_21
; %bb.20:
	ds_read_b128 v[3:6], v0 offset:6272
	v_add_co_u32_e32 v0, vcc, 0x1000, v2
	v_addc_co_u32_e32 v1, vcc, 0, v1, vcc
	s_waitcnt lgkmcnt(0)
	global_store_dwordx4 v[0:1], v[3:6], off offset:2432
.LBB0_21:
	s_endpgm
	.section	.rodata,"a",@progbits
	.p2align	6, 0x0
	.amdhsa_kernel fft_rtc_back_len408_factors_17_3_8_wgs_51_tpt_17_halfLds_dp_op_CI_CI_unitstride_sbrr_R2C_dirReg
		.amdhsa_group_segment_fixed_size 0
		.amdhsa_private_segment_fixed_size 0
		.amdhsa_kernarg_size 104
		.amdhsa_user_sgpr_count 6
		.amdhsa_user_sgpr_private_segment_buffer 1
		.amdhsa_user_sgpr_dispatch_ptr 0
		.amdhsa_user_sgpr_queue_ptr 0
		.amdhsa_user_sgpr_kernarg_segment_ptr 1
		.amdhsa_user_sgpr_dispatch_id 0
		.amdhsa_user_sgpr_flat_scratch_init 0
		.amdhsa_user_sgpr_private_segment_size 0
		.amdhsa_uses_dynamic_stack 0
		.amdhsa_system_sgpr_private_segment_wavefront_offset 0
		.amdhsa_system_sgpr_workgroup_id_x 1
		.amdhsa_system_sgpr_workgroup_id_y 0
		.amdhsa_system_sgpr_workgroup_id_z 0
		.amdhsa_system_sgpr_workgroup_info 0
		.amdhsa_system_vgpr_workitem_id 0
		.amdhsa_next_free_vgpr 239
		.amdhsa_next_free_sgpr 60
		.amdhsa_reserve_vcc 1
		.amdhsa_reserve_flat_scratch 0
		.amdhsa_float_round_mode_32 0
		.amdhsa_float_round_mode_16_64 0
		.amdhsa_float_denorm_mode_32 3
		.amdhsa_float_denorm_mode_16_64 3
		.amdhsa_dx10_clamp 1
		.amdhsa_ieee_mode 1
		.amdhsa_fp16_overflow 0
		.amdhsa_exception_fp_ieee_invalid_op 0
		.amdhsa_exception_fp_denorm_src 0
		.amdhsa_exception_fp_ieee_div_zero 0
		.amdhsa_exception_fp_ieee_overflow 0
		.amdhsa_exception_fp_ieee_underflow 0
		.amdhsa_exception_fp_ieee_inexact 0
		.amdhsa_exception_int_div_zero 0
	.end_amdhsa_kernel
	.text
.Lfunc_end0:
	.size	fft_rtc_back_len408_factors_17_3_8_wgs_51_tpt_17_halfLds_dp_op_CI_CI_unitstride_sbrr_R2C_dirReg, .Lfunc_end0-fft_rtc_back_len408_factors_17_3_8_wgs_51_tpt_17_halfLds_dp_op_CI_CI_unitstride_sbrr_R2C_dirReg
                                        ; -- End function
	.section	.AMDGPU.csdata,"",@progbits
; Kernel info:
; codeLenInByte = 22788
; NumSgprs: 64
; NumVgprs: 239
; ScratchSize: 0
; MemoryBound: 0
; FloatMode: 240
; IeeeMode: 1
; LDSByteSize: 0 bytes/workgroup (compile time only)
; SGPRBlocks: 7
; VGPRBlocks: 59
; NumSGPRsForWavesPerEU: 64
; NumVGPRsForWavesPerEU: 239
; Occupancy: 1
; WaveLimiterHint : 1
; COMPUTE_PGM_RSRC2:SCRATCH_EN: 0
; COMPUTE_PGM_RSRC2:USER_SGPR: 6
; COMPUTE_PGM_RSRC2:TRAP_HANDLER: 0
; COMPUTE_PGM_RSRC2:TGID_X_EN: 1
; COMPUTE_PGM_RSRC2:TGID_Y_EN: 0
; COMPUTE_PGM_RSRC2:TGID_Z_EN: 0
; COMPUTE_PGM_RSRC2:TIDIG_COMP_CNT: 0
	.type	__hip_cuid_b5441a86057718e,@object ; @__hip_cuid_b5441a86057718e
	.section	.bss,"aw",@nobits
	.globl	__hip_cuid_b5441a86057718e
__hip_cuid_b5441a86057718e:
	.byte	0                               ; 0x0
	.size	__hip_cuid_b5441a86057718e, 1

	.ident	"AMD clang version 19.0.0git (https://github.com/RadeonOpenCompute/llvm-project roc-6.4.0 25133 c7fe45cf4b819c5991fe208aaa96edf142730f1d)"
	.section	".note.GNU-stack","",@progbits
	.addrsig
	.addrsig_sym __hip_cuid_b5441a86057718e
	.amdgpu_metadata
---
amdhsa.kernels:
  - .args:
      - .actual_access:  read_only
        .address_space:  global
        .offset:         0
        .size:           8
        .value_kind:     global_buffer
      - .offset:         8
        .size:           8
        .value_kind:     by_value
      - .actual_access:  read_only
        .address_space:  global
        .offset:         16
        .size:           8
        .value_kind:     global_buffer
      - .actual_access:  read_only
        .address_space:  global
        .offset:         24
        .size:           8
        .value_kind:     global_buffer
      - .actual_access:  read_only
        .address_space:  global
        .offset:         32
        .size:           8
        .value_kind:     global_buffer
      - .offset:         40
        .size:           8
        .value_kind:     by_value
      - .actual_access:  read_only
        .address_space:  global
        .offset:         48
        .size:           8
        .value_kind:     global_buffer
      - .actual_access:  read_only
        .address_space:  global
        .offset:         56
        .size:           8
        .value_kind:     global_buffer
      - .offset:         64
        .size:           4
        .value_kind:     by_value
      - .actual_access:  read_only
        .address_space:  global
        .offset:         72
        .size:           8
        .value_kind:     global_buffer
      - .actual_access:  read_only
        .address_space:  global
        .offset:         80
        .size:           8
        .value_kind:     global_buffer
      - .actual_access:  read_only
        .address_space:  global
        .offset:         88
        .size:           8
        .value_kind:     global_buffer
      - .actual_access:  write_only
        .address_space:  global
        .offset:         96
        .size:           8
        .value_kind:     global_buffer
    .group_segment_fixed_size: 0
    .kernarg_segment_align: 8
    .kernarg_segment_size: 104
    .language:       OpenCL C
    .language_version:
      - 2
      - 0
    .max_flat_workgroup_size: 51
    .name:           fft_rtc_back_len408_factors_17_3_8_wgs_51_tpt_17_halfLds_dp_op_CI_CI_unitstride_sbrr_R2C_dirReg
    .private_segment_fixed_size: 0
    .sgpr_count:     64
    .sgpr_spill_count: 0
    .symbol:         fft_rtc_back_len408_factors_17_3_8_wgs_51_tpt_17_halfLds_dp_op_CI_CI_unitstride_sbrr_R2C_dirReg.kd
    .uniform_work_group_size: 1
    .uses_dynamic_stack: false
    .vgpr_count:     239
    .vgpr_spill_count: 0
    .wavefront_size: 64
amdhsa.target:   amdgcn-amd-amdhsa--gfx906
amdhsa.version:
  - 1
  - 2
...

	.end_amdgpu_metadata
